;; amdgpu-corpus repo=ROCm/rocFFT kind=compiled arch=gfx950 opt=O3
	.text
	.amdgcn_target "amdgcn-amd-amdhsa--gfx950"
	.amdhsa_code_object_version 6
	.protected	bluestein_single_back_len104_dim1_sp_op_CI_CI ; -- Begin function bluestein_single_back_len104_dim1_sp_op_CI_CI
	.globl	bluestein_single_back_len104_dim1_sp_op_CI_CI
	.p2align	8
	.type	bluestein_single_back_len104_dim1_sp_op_CI_CI,@function
bluestein_single_back_len104_dim1_sp_op_CI_CI: ; @bluestein_single_back_len104_dim1_sp_op_CI_CI
; %bb.0:
	s_load_dwordx4 s[12:15], s[0:1], 0x28
	v_lshrrev_b32_e32 v1, 3, v0
	v_mov_b32_e32 v81, 0
	v_lshl_or_b32 v78, s2, 3, v1
	v_mov_b32_e32 v79, v81
	s_waitcnt lgkmcnt(0)
	v_cmp_gt_u64_e32 vcc, s[12:13], v[78:79]
	s_and_saveexec_b64 s[2:3], vcc
	s_cbranch_execz .LBB0_14
; %bb.1:
	s_load_dwordx4 s[4:7], s[0:1], 0x18
	s_load_dwordx4 s[8:11], s[0:1], 0x0
	v_and_b32_e32 v79, 7, v0
	v_mov_b32_e32 v2, s14
	v_mov_b32_e32 v3, s15
	s_waitcnt lgkmcnt(0)
	s_load_dwordx4 s[16:19], s[4:5], 0x0
	v_lshlrev_b32_e32 v80, 3, v79
	v_mul_u32_u24_e32 v101, 0x68, v1
	v_lshl_or_b32 v106, v101, 3, v80
	s_mov_b32 s30, 0xbf52af12
	s_waitcnt lgkmcnt(0)
	v_mad_u64_u32 v[4:5], s[2:3], s18, v78, 0
	v_mad_u64_u32 v[6:7], s[2:3], s16, v79, 0
	v_mov_b32_e32 v0, v5
	v_mad_u64_u32 v[8:9], s[2:3], s19, v78, v[0:1]
	v_mov_b32_e32 v0, v7
	v_mov_b32_e32 v5, v8
	v_mad_u64_u32 v[8:9], s[2:3], s17, v79, v[0:1]
	v_mov_b32_e32 v7, v8
	v_lshl_add_u64 v[2:3], v[4:5], 3, v[2:3]
	v_lshl_add_u64 v[2:3], v[6:7], 3, v[2:3]
	s_lshl_b64 s[2:3], s[16:17], 6
	global_load_dwordx2 v[74:75], v80, s[8:9]
	global_load_dwordx2 v[4:5], v[2:3], off
	v_lshl_add_u64 v[2:3], v[2:3], 0, s[2:3]
	global_load_dwordx2 v[6:7], v[2:3], off
	global_load_dwordx2 v[76:77], v80, s[8:9] offset:64
	v_lshl_add_u64 v[2:3], v[2:3], 0, s[2:3]
	global_load_dwordx2 v[70:71], v80, s[8:9] offset:128
	global_load_dwordx2 v[8:9], v[2:3], off
	v_lshl_add_u64 v[2:3], v[2:3], 0, s[2:3]
	global_load_dwordx2 v[10:11], v[2:3], off
	global_load_dwordx2 v[72:73], v80, s[8:9] offset:192
	v_lshl_add_u64 v[2:3], v[2:3], 0, s[2:3]
	global_load_dwordx2 v[12:13], v[2:3], off
	global_load_dwordx2 v[68:69], v80, s[8:9] offset:256
	;; [unrolled: 3-line block ×4, first 2 shown]
	global_load_dwordx2 v[62:63], v80, s[8:9] offset:448
	v_lshl_add_u64 v[2:3], v[2:3], 0, s[2:3]
	global_load_dwordx2 v[18:19], v[2:3], off
	v_lshl_add_u64 v[2:3], v[2:3], 0, s[2:3]
	global_load_dwordx2 v[20:21], v[2:3], off
	global_load_dwordx2 v[60:61], v80, s[8:9] offset:512
	v_lshl_add_u64 v[2:3], v[2:3], 0, s[2:3]
	global_load_dwordx2 v[22:23], v[2:3], off
	global_load_dwordx2 v[58:59], v80, s[8:9] offset:576
	;; [unrolled: 3-line block ×3, first 2 shown]
	global_load_dwordx2 v[54:55], v80, s[8:9] offset:704
	v_lshl_add_u64 v[2:3], v[2:3], 0, s[2:3]
	global_load_dwordx2 v[26:27], v[2:3], off
	global_load_dwordx2 v[52:53], v80, s[8:9] offset:768
	v_lshl_add_u64 v[2:3], v[2:3], 0, s[2:3]
	global_load_dwordx2 v[2:3], v[2:3], off
	v_or_b32_e32 v0, v101, v79
	v_lshlrev_b32_e32 v107, 3, v0
	s_load_dwordx4 s[4:7], s[6:7], 0x0
	s_mov_b32 s2, 0x3f116cb1
	s_mov_b32 s31, 0xbeedf032
	;; [unrolled: 1-line block ×18, first 2 shown]
	s_waitcnt vmcnt(24)
	v_mul_f32_e32 v0, v5, v75
	v_mul_f32_e32 v1, v4, v75
	v_fmac_f32_e32 v0, v4, v74
	v_fma_f32 v1, v5, v74, -v1
	s_waitcnt vmcnt(22)
	v_mul_f32_e32 v4, v7, v77
	v_mul_f32_e32 v5, v6, v77
	ds_write_b64 v107, v[0:1]
	s_waitcnt vmcnt(20)
	v_mul_f32_e32 v0, v9, v71
	v_mul_f32_e32 v1, v8, v71
	v_fmac_f32_e32 v4, v6, v76
	v_fma_f32 v5, v7, v76, -v5
	v_fmac_f32_e32 v0, v8, v70
	v_fma_f32 v1, v9, v70, -v1
	s_waitcnt vmcnt(18)
	v_mul_f32_e32 v6, v11, v73
	v_mul_f32_e32 v7, v10, v73
	ds_write2_b64 v106, v[4:5], v[0:1] offset0:8 offset1:16
	s_waitcnt vmcnt(16)
	v_mul_f32_e32 v0, v13, v69
	v_mul_f32_e32 v1, v12, v69
	v_fmac_f32_e32 v6, v10, v72
	v_fma_f32 v7, v11, v72, -v7
	v_fmac_f32_e32 v0, v12, v68
	v_fma_f32 v1, v13, v68, -v1
	s_waitcnt vmcnt(14)
	v_mul_f32_e32 v4, v15, v67
	v_mul_f32_e32 v5, v14, v67
	ds_write2_b64 v106, v[6:7], v[0:1] offset0:24 offset1:32
	;; [unrolled: 11-line block ×3, first 2 shown]
	s_waitcnt vmcnt(8)
	v_mul_f32_e32 v0, v21, v61
	v_mul_f32_e32 v1, v20, v61
	v_fmac_f32_e32 v6, v18, v62
	v_fma_f32 v7, v19, v62, -v7
	v_fmac_f32_e32 v0, v20, v60
	v_fma_f32 v1, v21, v60, -v1
	ds_write2_b64 v106, v[6:7], v[0:1] offset0:56 offset1:64
	s_waitcnt vmcnt(6)
	v_mul_f32_e32 v0, v22, v59
	v_mul_f32_e32 v4, v23, v59
	v_fma_f32 v5, v23, v58, -v0
	s_waitcnt vmcnt(4)
	v_mul_f32_e32 v0, v25, v57
	v_mul_f32_e32 v1, v24, v57
	v_fmac_f32_e32 v4, v22, v58
	v_fmac_f32_e32 v0, v24, v56
	v_fma_f32 v1, v25, v56, -v1
	ds_write2_b64 v106, v[4:5], v[0:1] offset0:72 offset1:80
	s_waitcnt vmcnt(0)
	v_mul_f32_e32 v4, v3, v53
	v_mul_f32_e32 v0, v27, v55
	;; [unrolled: 1-line block ×3, first 2 shown]
	v_fmac_f32_e32 v4, v2, v52
	v_mul_f32_e32 v2, v2, v53
	v_fmac_f32_e32 v0, v26, v54
	v_fma_f32 v1, v27, v54, -v1
	v_fma_f32 v5, v3, v52, -v2
	ds_write2_b64 v106, v[0:1], v[4:5] offset0:88 offset1:96
	s_waitcnt lgkmcnt(0)
	; wave barrier
	s_waitcnt lgkmcnt(0)
	ds_read2_b64 v[4:7], v106 offset0:8 offset1:16
	ds_read2_b64 v[0:3], v106 offset0:88 offset1:96
	ds_read_b64 v[20:21], v107
	ds_read2_b64 v[16:19], v106 offset0:24 offset1:32
	ds_read2_b64 v[8:11], v106 offset0:72 offset1:80
	;; [unrolled: 1-line block ×4, first 2 shown]
	s_waitcnt lgkmcnt(5)
	v_pk_add_f32 v[24:25], v[4:5], v[2:3] neg_lo:[0,1] neg_hi:[0,1]
	v_pk_add_f32 v[22:23], v[2:3], v[4:5]
	v_pk_mul_f32 v[12:13], v[24:25], s[30:31] op_sel_hi:[1,0]
	v_pk_add_f32 v[32:33], v[6:7], v[0:1] neg_lo:[0,1] neg_hi:[0,1]
	v_pk_fma_f32 v[48:49], v[22:23], s[2:3], v[12:13] op_sel:[0,0,1] op_sel_hi:[1,0,0]
	v_pk_fma_f32 v[46:47], v[22:23], s[2:3], v[12:13] op_sel:[0,0,1] op_sel_hi:[1,0,0] neg_lo:[0,0,1] neg_hi:[0,0,1]
	v_pk_add_f32 v[26:27], v[0:1], v[6:7]
	v_pk_mul_f32 v[14:15], v[32:33], s[14:15] op_sel_hi:[1,0]
	v_mov_b32_e32 v12, v48
	v_mov_b32_e32 v13, v47
	v_pk_fma_f32 v[82:83], v[26:27], s[12:13], v[14:15] op_sel:[0,0,1] op_sel_hi:[1,0,0]
	v_pk_fma_f32 v[50:51], v[26:27], s[12:13], v[14:15] op_sel:[0,0,1] op_sel_hi:[1,0,0] neg_lo:[0,0,1] neg_hi:[0,0,1]
	s_waitcnt lgkmcnt(4)
	v_pk_add_f32 v[12:13], v[20:21], v[12:13]
	v_mov_b32_e32 v14, v82
	v_mov_b32_e32 v15, v51
	s_waitcnt lgkmcnt(2)
	v_pk_add_f32 v[36:37], v[16:17], v[10:11] neg_lo:[0,1] neg_hi:[0,1]
	v_pk_add_f32 v[12:13], v[14:15], v[12:13]
	v_pk_add_f32 v[34:35], v[10:11], v[16:17]
	v_pk_mul_f32 v[14:15], v[36:37], s[18:19] op_sel_hi:[1,0]
	v_pk_add_f32 v[40:41], v[18:19], v[8:9] neg_lo:[0,1] neg_hi:[0,1]
	v_pk_fma_f32 v[86:87], v[34:35], s[16:17], v[14:15] op_sel:[0,0,1] op_sel_hi:[1,0,0]
	v_pk_fma_f32 v[88:89], v[34:35], s[16:17], v[14:15] op_sel:[0,0,1] op_sel_hi:[1,0,0] neg_lo:[0,0,1] neg_hi:[0,0,1]
	v_mov_b32_e32 v14, v86
	v_mov_b32_e32 v15, v89
	v_pk_add_f32 v[12:13], v[14:15], v[12:13]
	v_pk_add_f32 v[38:39], v[8:9], v[18:19]
	v_pk_mul_f32 v[14:15], v[40:41], s[36:37] op_sel_hi:[1,0]
	s_waitcnt lgkmcnt(0)
	v_pk_add_f32 v[44:45], v[102:103], v[110:111] neg_lo:[0,1] neg_hi:[0,1]
	v_pk_fma_f32 v[92:93], v[38:39], s[20:21], v[14:15] op_sel:[0,0,1] op_sel_hi:[1,0,0]
	v_pk_fma_f32 v[94:95], v[38:39], s[20:21], v[14:15] op_sel:[0,0,1] op_sel_hi:[1,0,0] neg_lo:[0,0,1] neg_hi:[0,0,1]
	v_mov_b32_e32 v14, v92
	v_mov_b32_e32 v15, v95
	v_pk_add_f32 v[12:13], v[14:15], v[12:13]
	v_pk_add_f32 v[42:43], v[110:111], v[102:103]
	v_pk_mul_f32 v[14:15], v[44:45], s[24:25] op_sel_hi:[1,0]
	s_mov_b32 s17, s20
	v_pk_fma_f32 v[96:97], v[42:43], s[22:23], v[14:15] op_sel:[0,0,1] op_sel_hi:[1,0,0]
	v_pk_fma_f32 v[98:99], v[42:43], s[22:23], v[14:15] op_sel:[0,0,1] op_sel_hi:[1,0,0] neg_lo:[0,0,1] neg_hi:[0,0,1]
	v_mov_b32_e32 v14, v96
	v_mov_b32_e32 v15, v99
	v_pk_add_f32 v[12:13], v[14:15], v[12:13]
	v_pk_mul_f32 v[14:15], v[24:25], s[38:39] op_sel_hi:[1,0]
	v_pk_mul_f32 v[28:29], v[32:33], s[18:19] op_sel_hi:[1,0]
	v_pk_fma_f32 v[112:113], v[22:23], s[22:23], v[14:15] op_sel:[0,0,1] op_sel_hi:[1,0,0]
	v_pk_fma_f32 v[114:115], v[22:23], s[22:23], v[14:15] op_sel:[0,0,1] op_sel_hi:[1,0,0] neg_lo:[0,0,1] neg_hi:[0,0,1]
	v_mov_b32_e32 v14, v112
	v_mov_b32_e32 v15, v115
	v_pk_fma_f32 v[116:117], v[26:27], s[16:17], v[28:29] op_sel:[0,0,1] op_sel_hi:[1,0,0]
	v_pk_fma_f32 v[118:119], v[26:27], s[16:17], v[28:29] op_sel:[0,0,1] op_sel_hi:[1,0,0] neg_lo:[0,0,1] neg_hi:[0,0,1]
	v_pk_add_f32 v[14:15], v[20:21], v[14:15]
	v_mov_b32_e32 v28, v116
	v_mov_b32_e32 v29, v119
	v_pk_add_f32 v[14:15], v[28:29], v[14:15]
	v_pk_mul_f32 v[28:29], v[36:37], s[26:27] op_sel_hi:[1,0]
	s_mov_b32 s26, s3
	v_pk_fma_f32 v[120:121], v[34:35], s[12:13], v[28:29] op_sel:[0,0,1] op_sel_hi:[1,0,0]
	v_pk_fma_f32 v[122:123], v[34:35], s[12:13], v[28:29] op_sel:[0,0,1] op_sel_hi:[1,0,0] neg_lo:[0,0,1] neg_hi:[0,0,1]
	v_mov_b32_e32 v28, v120
	v_mov_b32_e32 v29, v123
	v_pk_add_f32 v[14:15], v[28:29], v[14:15]
	v_pk_mul_f32 v[28:29], v[40:41], s[28:29] op_sel_hi:[1,0]
	v_pk_add_f32 v[90:91], v[104:105], v[108:109] neg_lo:[0,1] neg_hi:[0,1]
	v_pk_fma_f32 v[124:125], v[38:39], s[26:27], v[28:29] op_sel:[0,0,1] op_sel_hi:[1,0,0]
	v_pk_fma_f32 v[126:127], v[38:39], s[26:27], v[28:29] op_sel:[0,0,1] op_sel_hi:[1,0,0] neg_lo:[0,0,1] neg_hi:[0,0,1]
	v_mov_b32_e32 v28, v124
	v_mov_b32_e32 v29, v127
	v_pk_add_f32 v[14:15], v[28:29], v[14:15]
	v_pk_mul_f32 v[28:29], v[44:45], s[30:31] op_sel_hi:[1,0]
	v_pk_add_f32 v[84:85], v[108:109], v[104:105]
	v_pk_fma_f32 v[128:129], v[42:43], s[2:3], v[28:29] op_sel:[0,0,1] op_sel_hi:[1,0,0]
	v_pk_fma_f32 v[130:131], v[42:43], s[2:3], v[28:29] op_sel:[0,0,1] op_sel_hi:[1,0,0] neg_lo:[0,0,1] neg_hi:[0,0,1]
	v_mov_b32_e32 v28, v128
	v_mov_b32_e32 v29, v131
	v_pk_add_f32 v[28:29], v[28:29], v[14:15]
	v_pk_mul_f32 v[14:15], v[90:91], s[28:29] op_sel_hi:[1,0]
	v_pk_mul_f32 v[30:31], v[32:33], s[36:37] op_sel_hi:[1,0]
	v_pk_fma_f32 v[132:133], v[84:85], s[26:27], v[14:15] op_sel:[0,0,1] op_sel_hi:[1,0,0]
	v_pk_fma_f32 v[134:135], v[84:85], s[26:27], v[14:15] op_sel:[0,0,1] op_sel_hi:[1,0,0] neg_lo:[0,0,1] neg_hi:[0,0,1]
	v_mov_b32_e32 v14, v132
	v_mov_b32_e32 v15, v135
	v_pk_add_f32 v[14:15], v[14:15], v[12:13]
	v_pk_mul_f32 v[12:13], v[90:91], s[34:35] op_sel_hi:[1,0]
	v_pk_fma_f32 v[144:145], v[26:27], s[20:21], v[30:31] op_sel:[0,0,1] op_sel_hi:[1,0,0]
	v_pk_fma_f32 v[136:137], v[84:85], s[20:21], v[12:13] op_sel:[0,0,1] op_sel_hi:[1,0,0]
	v_pk_fma_f32 v[138:139], v[84:85], s[20:21], v[12:13] op_sel:[0,0,1] op_sel_hi:[1,0,0] neg_lo:[0,0,1] neg_hi:[0,0,1]
	v_mov_b32_e32 v12, v136
	v_mov_b32_e32 v13, v139
	v_pk_add_f32 v[12:13], v[12:13], v[28:29]
	v_pk_mul_f32 v[28:29], v[24:25], s[14:15] op_sel_hi:[1,0]
	v_pk_fma_f32 v[146:147], v[26:27], s[20:21], v[30:31] op_sel:[0,0,1] op_sel_hi:[1,0,0] neg_lo:[0,0,1] neg_hi:[0,0,1]
	v_pk_fma_f32 v[140:141], v[22:23], s[12:13], v[28:29] op_sel:[0,0,1] op_sel_hi:[1,0,0]
	v_pk_fma_f32 v[142:143], v[22:23], s[12:13], v[28:29] op_sel:[0,0,1] op_sel_hi:[1,0,0] neg_lo:[0,0,1] neg_hi:[0,0,1]
	v_mov_b32_e32 v28, v140
	v_mov_b32_e32 v29, v143
	v_pk_add_f32 v[28:29], v[20:21], v[28:29]
	v_mov_b32_e32 v30, v144
	v_mov_b32_e32 v31, v147
	v_pk_add_f32 v[28:29], v[30:31], v[28:29]
	v_pk_mul_f32 v[30:31], v[36:37], s[28:29] op_sel_hi:[1,0]
	s_mov_b32 s36, 0x3e750f2a
	v_pk_fma_f32 v[148:149], v[34:35], s[26:27], v[30:31] op_sel:[0,0,1] op_sel_hi:[1,0,0]
	v_pk_fma_f32 v[150:151], v[34:35], s[26:27], v[30:31] op_sel:[0,0,1] op_sel_hi:[1,0,0] neg_lo:[0,0,1] neg_hi:[0,0,1]
	v_mov_b32_e32 v30, v148
	v_mov_b32_e32 v31, v151
	v_pk_add_f32 v[28:29], v[30:31], v[28:29]
	v_pk_mul_f32 v[30:31], v[40:41], s[38:39] op_sel_hi:[1,0]
	v_pk_mul_f32 v[164:165], v[32:33], s[24:25] op_sel_hi:[1,0]
	v_pk_fma_f32 v[152:153], v[38:39], s[22:23], v[30:31] op_sel:[0,0,1] op_sel_hi:[1,0,0]
	v_pk_fma_f32 v[154:155], v[38:39], s[22:23], v[30:31] op_sel:[0,0,1] op_sel_hi:[1,0,0] neg_lo:[0,0,1] neg_hi:[0,0,1]
	v_mov_b32_e32 v30, v152
	v_mov_b32_e32 v31, v155
	v_pk_add_f32 v[28:29], v[30:31], v[28:29]
	v_pk_mul_f32 v[30:31], v[44:45], s[36:37] op_sel_hi:[1,0]
	v_pk_fma_f32 v[166:167], v[26:27], s[22:23], v[164:165] op_sel:[0,0,1] op_sel_hi:[1,0,0]
	v_pk_fma_f32 v[156:157], v[42:43], s[16:17], v[30:31] op_sel:[0,0,1] op_sel_hi:[1,0,0]
	v_pk_fma_f32 v[158:159], v[42:43], s[16:17], v[30:31] op_sel:[0,0,1] op_sel_hi:[1,0,0] neg_lo:[0,0,1] neg_hi:[0,0,1]
	v_mov_b32_e32 v30, v156
	v_mov_b32_e32 v31, v159
	v_pk_add_f32 v[28:29], v[30:31], v[28:29]
	v_pk_mul_f32 v[30:31], v[24:25], s[34:35] op_sel_hi:[1,0]
	v_pk_fma_f32 v[164:165], v[26:27], s[22:23], v[164:165] op_sel:[0,0,1] op_sel_hi:[1,0,0] neg_lo:[0,0,1] neg_hi:[0,0,1]
	v_pk_fma_f32 v[160:161], v[22:23], s[20:21], v[30:31] op_sel:[0,0,1] op_sel_hi:[1,0,0]
	v_pk_fma_f32 v[162:163], v[22:23], s[20:21], v[30:31] op_sel:[0,0,1] op_sel_hi:[1,0,0] neg_lo:[0,0,1] neg_hi:[0,0,1]
	v_mov_b32_e32 v30, v160
	v_mov_b32_e32 v31, v163
	v_pk_add_f32 v[4:5], v[20:21], v[4:5]
	v_pk_add_f32 v[30:31], v[20:21], v[30:31]
	v_mov_b32_e32 v168, v166
	v_mov_b32_e32 v169, v165
	v_pk_add_f32 v[4:5], v[4:5], v[6:7]
	v_pk_add_f32 v[30:31], v[168:169], v[30:31]
	v_pk_mul_f32 v[168:169], v[36:37], s[30:31] op_sel_hi:[1,0]
	v_pk_add_f32 v[4:5], v[4:5], v[16:17]
	v_pk_fma_f32 v[170:171], v[34:35], s[2:3], v[168:169] op_sel:[0,0,1] op_sel_hi:[1,0,0]
	v_pk_fma_f32 v[168:169], v[34:35], s[2:3], v[168:169] op_sel:[0,0,1] op_sel_hi:[1,0,0] neg_lo:[0,0,1] neg_hi:[0,0,1]
	v_pk_add_f32 v[4:5], v[4:5], v[18:19]
	v_mov_b32_e32 v172, v170
	v_mov_b32_e32 v173, v169
	v_pk_add_f32 v[4:5], v[4:5], v[102:103]
	v_pk_add_f32 v[30:31], v[172:173], v[30:31]
	v_pk_mul_f32 v[172:173], v[40:41], s[36:37] op_sel_hi:[1,0]
	v_pk_add_f32 v[4:5], v[4:5], v[104:105]
	v_pk_fma_f32 v[174:175], v[38:39], s[16:17], v[172:173] op_sel:[0,0,1] op_sel_hi:[1,0,0]
	v_pk_fma_f32 v[172:173], v[38:39], s[16:17], v[172:173] op_sel:[0,0,1] op_sel_hi:[1,0,0] neg_lo:[0,0,1] neg_hi:[0,0,1]
	;; [unrolled: 9-line block ×3, first 2 shown]
	v_pk_add_f32 v[4:5], v[4:5], v[10:11]
	v_mov_b32_e32 v180, v178
	v_mov_b32_e32 v181, v177
	s_mov_b32 s36, 0x3f52af12
	v_pk_add_f32 v[0:1], v[4:5], v[0:1]
	v_mov_b32_e32 v4, v33
	v_mov_b32_e32 v5, v25
	;; [unrolled: 1-line block ×4, first 2 shown]
	v_pk_add_f32 v[180:181], v[180:181], v[30:31]
	v_pk_mul_f32 v[30:31], v[90:91], s[36:37] op_sel_hi:[1,0]
	v_pk_add_f32 v[0:1], v[0:1], v[2:3]
	v_mov_b32_e32 v2, v26
	v_mov_b32_e32 v3, v22
	v_pk_mul_f32 v[4:5], v[4:5], s[30:31]
	v_mov_b32_e32 v6, v27
	v_mov_b32_e32 v7, v23
	v_pk_mul_f32 v[8:9], v[8:9], s[30:31]
	v_pk_fma_f32 v[182:183], v[84:85], s[2:3], v[30:31] op_sel:[0,0,1] op_sel_hi:[1,0,0]
	v_pk_fma_f32 v[184:185], v[84:85], s[2:3], v[30:31] op_sel:[0,0,1] op_sel_hi:[1,0,0] neg_lo:[0,0,1] neg_hi:[0,0,1]
	v_pk_fma_f32 v[10:11], v[2:3], s[2:3], v[4:5] neg_lo:[0,0,1] neg_hi:[0,0,1]
	v_pk_fma_f32 v[16:17], v[6:7], s[2:3], v[8:9]
	v_mov_b32_e32 v30, v182
	v_mov_b32_e32 v31, v185
	;; [unrolled: 1-line block ×4, first 2 shown]
	v_pk_add_f32 v[30:31], v[30:31], v[28:29]
	v_pk_mul_f32 v[28:29], v[90:91], s[14:15] op_sel_hi:[1,0]
	v_mov_b32_e32 v11, v16
	v_pk_add_f32 v[16:17], v[20:21], v[18:19]
	v_mov_b32_e32 v18, v41
	v_mov_b32_e32 v19, v37
	;; [unrolled: 1-line block ×4, first 2 shown]
	v_pk_fma_f32 v[186:187], v[84:85], s[12:13], v[28:29] op_sel:[0,0,1] op_sel_hi:[1,0,0]
	v_pk_fma_f32 v[188:189], v[84:85], s[12:13], v[28:29] op_sel:[0,0,1] op_sel_hi:[1,0,0] neg_lo:[0,0,1] neg_hi:[0,0,1]
	v_pk_add_f32 v[10:11], v[10:11], v[16:17]
	v_mov_b32_e32 v16, v38
	v_mov_b32_e32 v17, v34
	v_pk_mul_f32 v[18:19], v[18:19], s[14:15]
	v_mov_b32_e32 v102, v39
	v_mov_b32_e32 v103, v35
	v_pk_mul_f32 v[104:105], v[104:105], s[14:15]
	v_mov_b32_e32 v28, v186
	v_mov_b32_e32 v29, v189
	v_pk_fma_f32 v[108:109], v[16:17], s[12:13], v[18:19] neg_lo:[0,0,1] neg_hi:[0,0,1]
	v_pk_fma_f32 v[110:111], v[102:103], s[12:13], v[104:105]
	v_pk_add_f32 v[28:29], v[28:29], v[180:181]
	v_mov_b32_e32 v180, v109
	v_mov_b32_e32 v181, v111
	v_pk_add_f32 v[10:11], v[180:181], v[10:11]
	v_mov_b32_e32 v109, v110
	v_mov_b32_e32 v110, v91
	;; [unrolled: 1-line block ×5, first 2 shown]
	v_pk_add_f32 v[10:11], v[108:109], v[10:11]
	v_mov_b32_e32 v108, v84
	v_mov_b32_e32 v109, v42
	v_pk_mul_f32 v[110:111], v[110:111], s[18:19]
	v_mov_b32_e32 v180, v85
	v_mov_b32_e32 v181, v43
	v_pk_mul_f32 v[190:191], v[190:191], s[18:19]
	v_pk_fma_f32 v[192:193], v[108:109], s[16:17], v[110:111] neg_lo:[0,0,1] neg_hi:[0,0,1]
	v_pk_fma_f32 v[194:195], v[180:181], s[16:17], v[190:191]
	v_mov_b32_e32 v51, v190
	v_mov_b32_e32 v194, v193
	v_pk_add_f32 v[10:11], v[194:195], v[10:11]
	v_pk_mul_f32 v[194:195], v[180:181], s[16:17]
	v_mov_b32_e32 v115, v113
	v_mov_b32_e32 v47, v194
	v_pk_add_f32 v[194:195], v[50:51], v[46:47]
	v_mul_u32_u24_e32 v47, 13, v79
	v_mov_b32_e32 v193, v195
	v_pk_add_f32 v[10:11], v[192:193], v[10:11]
	v_add_lshl_u32 v100, v101, v47, 3
	v_mov_b32_e32 v47, v49
	s_waitcnt lgkmcnt(0)
	; wave barrier
	ds_write2_b64 v100, v[0:1], v[10:11] offset1:1
	v_mov_b32_e32 v51, v83
	v_pk_add_f32 v[0:1], v[20:21], v[46:47]
	v_mov_b32_e32 v119, v117
	v_pk_add_f32 v[10:11], v[20:21], v[114:115]
	v_pk_add_f32 v[0:1], v[50:51], v[0:1]
	v_mov_b32_e32 v89, v87
	v_pk_add_f32 v[10:11], v[118:119], v[10:11]
	v_mov_b32_e32 v123, v121
	;; [unrolled: 2-line block ×8, first 2 shown]
	v_pk_add_f32 v[0:1], v[134:135], v[0:1]
	v_pk_add_f32 v[10:11], v[138:139], v[10:11]
	v_mov_b32_e32 v143, v141
	v_mov_b32_e32 v163, v161
	ds_write2_b64 v100, v[0:1], v[10:11] offset0:2 offset1:3
	v_mov_b32_e32 v147, v145
	v_pk_add_f32 v[0:1], v[20:21], v[142:143]
	v_mov_b32_e32 v165, v167
	v_pk_add_f32 v[10:11], v[20:21], v[162:163]
	v_pk_add_f32 v[0:1], v[146:147], v[0:1]
	v_mov_b32_e32 v151, v149
	v_pk_add_f32 v[10:11], v[164:165], v[10:11]
	v_mov_b32_e32 v169, v171
	;; [unrolled: 2-line block ×8, first 2 shown]
	v_pk_add_f32 v[0:1], v[184:185], v[0:1]
	v_pk_add_f32 v[10:11], v[188:189], v[10:11]
	ds_write2_b64 v100, v[0:1], v[10:11] offset0:4 offset1:5
	v_pk_fma_f32 v[0:1], v[2:3], s[2:3], v[4:5]
	v_pk_fma_f32 v[4:5], v[16:17], s[12:13], v[18:19]
	v_pk_mul_f32 v[16:17], v[24:25], s[18:19] op_sel_hi:[1,0]
	v_pk_fma_f32 v[2:3], v[6:7], s[2:3], v[8:9] neg_lo:[0,0,1] neg_hi:[0,0,1]
	v_pk_fma_f32 v[18:19], v[22:23], s[16:17], v[16:17] op_sel:[0,0,1] op_sel_hi:[1,0,0] neg_lo:[0,0,1] neg_hi:[0,0,1]
	v_pk_fma_f32 v[16:17], v[22:23], s[16:17], v[16:17] op_sel:[0,0,1] op_sel_hi:[1,0,0]
	v_pk_mul_f32 v[22:23], v[32:33], s[28:29] op_sel_hi:[1,0]
	v_pk_fma_f32 v[6:7], v[102:103], s[12:13], v[104:105] neg_lo:[0,0,1] neg_hi:[0,0,1]
	v_pk_fma_f32 v[24:25], v[26:27], s[26:27], v[22:23] op_sel:[0,0,1] op_sel_hi:[1,0,0] neg_lo:[0,0,1] neg_hi:[0,0,1]
	v_pk_fma_f32 v[22:23], v[26:27], s[26:27], v[22:23] op_sel:[0,0,1] op_sel_hi:[1,0,0]
	v_mov_b32_e32 v26, v18
	v_mov_b32_e32 v27, v17
	v_pk_add_f32 v[26:27], v[20:21], v[26:27]
	v_mov_b32_e32 v32, v24
	v_mov_b32_e32 v33, v23
	v_pk_add_f32 v[26:27], v[32:33], v[26:27]
	v_pk_mul_f32 v[32:33], v[36:37], s[34:35] op_sel_hi:[1,0]
	v_mov_b32_e32 v17, v19
	v_pk_fma_f32 v[36:37], v[34:35], s[20:21], v[32:33] op_sel:[0,0,1] op_sel_hi:[1,0,0] neg_lo:[0,0,1] neg_hi:[0,0,1]
	v_pk_fma_f32 v[32:33], v[34:35], s[20:21], v[32:33] op_sel:[0,0,1] op_sel_hi:[1,0,0]
	v_mov_b32_e32 v34, v36
	v_mov_b32_e32 v35, v33
	v_pk_add_f32 v[26:27], v[34:35], v[26:27]
	v_pk_mul_f32 v[34:35], v[40:41], s[36:37] op_sel_hi:[1,0]
	v_mov_b32_e32 v23, v25
	v_pk_fma_f32 v[40:41], v[38:39], s[2:3], v[34:35] op_sel:[0,0,1] op_sel_hi:[1,0,0] neg_lo:[0,0,1] neg_hi:[0,0,1]
	v_pk_fma_f32 v[34:35], v[38:39], s[2:3], v[34:35] op_sel:[0,0,1] op_sel_hi:[1,0,0]
	v_mov_b32_e32 v38, v40
	v_mov_b32_e32 v39, v35
	v_pk_add_f32 v[26:27], v[38:39], v[26:27]
	v_pk_mul_f32 v[38:39], v[44:45], s[14:15] op_sel_hi:[1,0]
	v_pk_add_f32 v[16:17], v[20:21], v[16:17]
	v_pk_fma_f32 v[44:45], v[42:43], s[12:13], v[38:39] op_sel:[0,0,1] op_sel_hi:[1,0,0] neg_lo:[0,0,1] neg_hi:[0,0,1]
	v_pk_fma_f32 v[38:39], v[42:43], s[12:13], v[38:39] op_sel:[0,0,1] op_sel_hi:[1,0,0]
	v_mov_b32_e32 v42, v44
	v_mov_b32_e32 v43, v39
	v_pk_add_f32 v[16:17], v[22:23], v[16:17]
	v_mov_b32_e32 v33, v37
	v_pk_add_f32 v[26:27], v[42:43], v[26:27]
	v_pk_mul_f32 v[42:43], v[90:91], s[24:25] op_sel_hi:[1,0]
	v_pk_add_f32 v[16:17], v[32:33], v[16:17]
	v_mov_b32_e32 v35, v41
	v_pk_fma_f32 v[46:47], v[84:85], s[22:23], v[42:43] op_sel:[0,0,1] op_sel_hi:[1,0,0] neg_lo:[0,0,1] neg_hi:[0,0,1]
	v_pk_fma_f32 v[42:43], v[84:85], s[22:23], v[42:43] op_sel:[0,0,1] op_sel_hi:[1,0,0]
	v_pk_add_f32 v[16:17], v[34:35], v[16:17]
	v_mov_b32_e32 v39, v45
	v_mov_b32_e32 v48, v46
	;; [unrolled: 1-line block ×3, first 2 shown]
	v_pk_add_f32 v[16:17], v[38:39], v[16:17]
	v_mov_b32_e32 v43, v47
	v_pk_add_f32 v[26:27], v[48:49], v[26:27]
	v_pk_add_f32 v[16:17], v[42:43], v[16:17]
	ds_write2_b64 v100, v[26:27], v[16:17] offset0:6 offset1:7
	ds_write2_b64 v100, v[28:29], v[30:31] offset0:8 offset1:9
	;; [unrolled: 1-line block ×3, first 2 shown]
	v_mov_b32_e32 v16, v1
	v_mov_b32_e32 v17, v3
	v_pk_add_f32 v[16:17], v[20:21], v[16:17]
	v_mov_b32_e32 v1, v2
	v_pk_add_f32 v[0:1], v[0:1], v[16:17]
	v_mov_b32_e32 v2, v5
	v_mov_b32_e32 v3, v7
	v_pk_fma_f32 v[8:9], v[108:109], s[16:17], v[110:111]
	v_pk_fma_f32 v[10:11], v[180:181], s[16:17], v[190:191] neg_lo:[0,0,1] neg_hi:[0,0,1]
	v_pk_add_f32 v[0:1], v[2:3], v[0:1]
	v_mov_b32_e32 v5, v6
	v_pk_add_f32 v[0:1], v[4:5], v[0:1]
	v_mov_b32_e32 v2, v9
	v_mov_b32_e32 v3, v11
	v_pk_add_f32 v[0:1], v[2:3], v[0:1]
	v_mov_b32_e32 v9, v10
	v_pk_add_f32 v[82:83], v[8:9], v[0:1]
	ds_write_b64 v100, v[82:83] offset:96
	s_waitcnt lgkmcnt(0)
	; wave barrier
	s_waitcnt lgkmcnt(0)
	ds_read2_b64 v[40:43], v106 offset0:13 offset1:26
	ds_read2_b64 v[36:39], v106 offset0:39 offset1:52
	ds_read2_b64 v[32:35], v106 offset0:65 offset1:78
	ds_read_b64 v[84:85], v107
	ds_read_b64 v[86:87], v106 offset:728
	s_load_dwordx2 s[2:3], s[0:1], 0x38
	v_or_b32_e32 v0, 8, v79
	v_mov_b32_e32 v1, v81
	v_cmp_gt_u64_e32 vcc, 13, v[0:1]
	v_cmp_lt_u64_e64 s[0:1], 12, v[0:1]
                                        ; implicit-def: $vgpr89
	s_and_saveexec_b64 s[12:13], s[0:1]
	s_xor_b64 s[12:13], exec, s[12:13]
; %bb.2:
	v_mov_b32_e32 v89, v82
; %bb.3:
	s_or_saveexec_b64 s[12:13], s[12:13]
                                        ; implicit-def: $vgpr46
                                        ; implicit-def: $vgpr50
	s_xor_b64 exec, exec, s[12:13]
	s_cbranch_execz .LBB0_5
; %bb.4:
	ds_read2_b64 v[44:47], v106 offset0:86 offset1:99
	ds_read2_b64 v[48:51], v106 offset0:60 offset1:73
	;; [unrolled: 1-line block ×4, first 2 shown]
	s_waitcnt lgkmcnt(0)
	v_mov_b32_e32 v82, v44
	v_mov_b32_e32 v83, v49
	;; [unrolled: 1-line block ×4, first 2 shown]
.LBB0_5:
	s_or_b64 exec, exec, s[12:13]
	v_add_u32_e32 v1, -5, v79
	v_cndmask_b32_e32 v0, v1, v0, vcc
	v_mul_hi_i32_i24_e32 v1, 56, v0
	v_mul_i32_i24_e32 v0, 56, v0
	v_lshl_add_u64 v[16:17], s[10:11], 0, v[0:1]
	global_load_dwordx4 v[4:7], v[16:17], off
	global_load_dwordx4 v[8:11], v[16:17], off offset:16
	global_load_dwordx4 v[0:3], v[16:17], off offset:32
	global_load_dwordx2 v[44:45], v[16:17], off offset:48
	v_mad_u64_u32 v[90:91], s[10:11], v79, 56, s[10:11]
	global_load_dwordx4 v[16:19], v[90:91], off offset:16
	global_load_dwordx4 v[20:23], v[90:91], off
	global_load_dwordx2 v[48:49], v[90:91], off offset:48
	global_load_dwordx4 v[24:27], v[90:91], off offset:32
	v_mov_b32_e32 v96, v29
	v_mov_b32_e32 v98, v29
	;; [unrolled: 1-line block ×4, first 2 shown]
	v_add_f32_e32 v95, v28, v28
	s_mov_b32 s10, 0x3f3504f3
	s_waitcnt vmcnt(7)
	v_pk_mul_f32 v[102:103], v[12:13], v[6:7]
	s_waitcnt vmcnt(6)
	v_pk_mul_f32 v[108:109], v[88:89], v[10:11]
	v_pk_mul_f32 v[90:91], v[30:31], v[4:5]
	v_mul_f32_e32 v29, v31, v4
	v_mov_b32_e32 v102, v7
	v_mul_f32_e32 v93, v15, v8
	s_waitcnt vmcnt(5)
	v_mov_b32_e32 v108, v3
	v_pk_mul_f32 v[104:105], v[14:15], v[8:9]
	v_pk_mul_f32 v[110:111], v[50:51], v[0:1]
	s_waitcnt vmcnt(4)
	v_pk_mul_f32 v[112:113], v[46:47], v[44:45]
	v_mul_f32_e32 v51, v51, v0
	v_mul_f32_e32 v97, v47, v44
	v_mov_b32_e32 v116, v3
	v_mov_b32_e32 v117, v11
	v_sub_f32_e32 v99, v90, v91
	v_fmac_f32_e32 v29, v30, v5
	v_mov_b32_e32 v30, v103
	v_pk_mul_f32 v[90:91], v[12:13], v[102:103]
	v_fmac_f32_e32 v93, v14, v9
	v_mov_b32_e32 v14, v109
	v_pk_mul_f32 v[102:103], v[88:89], v[108:109]
	v_mov_b32_e32 v114, v2
	v_mov_b32_e32 v115, v10
	v_sub_f32_e32 v118, v104, v105
	v_sub_f32_e32 v104, v110, v111
	v_fmac_f32_e32 v51, v50, v1
	v_sub_f32_e32 v50, v112, v113
	v_fmac_f32_e32 v97, v46, v45
	v_pk_mul_f32 v[46:47], v[82:83], v[116:117]
	v_pk_fma_f32 v[12:13], v[12:13], v[6:7], v[30:31] neg_lo:[0,0,1] neg_hi:[0,0,1]
	v_pk_fma_f32 v[90:91], v[92:93], v[6:7], v[90:91]
	v_pk_fma_f32 v[14:15], v[94:95], v[10:11], v[14:15]
	v_pk_fma_f32 v[30:31], v[82:83], v[2:3], v[102:103] neg_lo:[0,0,1] neg_hi:[0,0,1]
	v_sub_f32_e32 v92, v99, v104
	v_sub_f32_e32 v51, v29, v51
	;; [unrolled: 1-line block ×4, first 2 shown]
	v_pk_fma_f32 v[82:83], v[88:89], v[2:3], v[46:47]
	v_pk_fma_f32 v[46:47], v[88:89], v[114:115], v[46:47] neg_lo:[0,0,1] neg_hi:[0,0,1]
	v_pk_add_f32 v[104:105], v[12:13], v[30:31] neg_lo:[0,1] neg_hi:[0,1]
	v_pk_add_f32 v[96:97], v[96:97], v[14:15] neg_lo:[0,1] neg_hi:[0,1]
	v_fma_f32 v50, v29, 2.0, -v51
	v_fma_f32 v29, v118, 2.0, -v91
	v_add_f32_e32 v103, v51, v91
	v_mov_b32_e32 v83, v47
	v_mov_b32_e32 v91, v28
	v_pk_add_f32 v[14:15], v[96:97], v[104:105]
	v_fma_f32 v13, v99, 2.0, -v92
	v_fma_f32 v102, v51, 2.0, -v103
	v_mov_b32_e32 v99, v96
	v_pk_add_f32 v[82:83], v[90:91], v[82:83] neg_lo:[0,1] neg_hi:[0,1]
	v_mov_b32_e32 v97, v14
	v_fma_f32 v31, v93, 2.0, -v94
	v_sub_f32_e32 v93, v92, v94
	v_fma_f32 v47, v12, 2.0, -v104
	v_mul_f32_e32 v105, 0x3f3504f3, v102
	v_fma_f32 v104, v90, 2.0, -v82
	v_mov_b32_e32 v94, v83
	v_pk_fma_f32 v[90:91], v[98:99], 2.0, v[96:97] op_sel_hi:[1,0,1] neg_lo:[0,0,1] neg_hi:[0,0,1]
	v_sub_f32_e32 v30, v13, v29
	v_pk_add_f32 v[28:29], v[94:95], v[82:83] neg_lo:[0,1] neg_hi:[0,1]
	v_pk_add_f32 v[94:95], v[90:91], v[104:105] neg_lo:[0,1] neg_hi:[0,1]
	s_waitcnt vmcnt(2) lgkmcnt(0)
	v_pk_mul_f32 v[104:105], v[40:41], v[20:21] op_sel:[0,1]
	v_mul_f32_e32 v46, 0x3f3504f3, v93
	v_pk_fma_f32 v[108:109], v[40:41], v[20:21], v[104:105] op_sel:[0,0,1] op_sel_hi:[1,1,0] neg_lo:[0,0,1] neg_hi:[0,0,1]
	v_pk_fma_f32 v[40:41], v[40:41], v[20:21], v[104:105] op_sel:[0,0,1] op_sel_hi:[1,0,0]
	v_fma_f32 v12, v92, 2.0, -v93
	v_mov_b32_e32 v40, v23
	v_mov_b32_e32 v109, v41
	v_pk_mul_f32 v[40:41], v[42:43], v[40:41] op_sel_hi:[1,0]
	v_pk_add_f32 v[96:97], v[28:29], v[46:47]
	v_pk_fma_f32 v[104:105], v[42:43], v[22:23], v[40:41] op_sel:[0,0,1] op_sel_hi:[1,1,0] neg_lo:[0,0,1] neg_hi:[0,0,1]
	v_pk_fma_f32 v[40:41], v[42:43], v[22:23], v[40:41] op_sel:[0,0,1] op_sel_hi:[1,0,0]
	v_pk_add_f32 v[98:99], v[28:29], v[46:47] neg_lo:[0,1] neg_hi:[0,1]
	v_mov_b32_e32 v105, v41
	v_pk_mul_f32 v[40:41], v[36:37], v[16:17] op_sel:[0,1]
	v_sub_f32_e32 v89, v50, v31
	v_pk_fma_f32 v[42:43], v[36:37], v[16:17], v[40:41] op_sel:[0,0,1] op_sel_hi:[1,1,0] neg_lo:[0,0,1] neg_hi:[0,0,1]
	v_pk_fma_f32 v[36:37], v[36:37], v[16:17], v[40:41] op_sel:[0,0,1] op_sel_hi:[1,0,0]
	v_mul_f32_e32 v88, 0x3f3504f3, v103
	v_mov_b32_e32 v36, v19
	v_mov_b32_e32 v43, v37
	v_pk_mul_f32 v[36:37], v[38:39], v[36:37] op_sel_hi:[1,0]
	v_mul_f32_e32 v31, 0x3f3504f3, v12
	v_pk_fma_f32 v[40:41], v[38:39], v[18:19], v[36:37] op_sel:[0,0,1] op_sel_hi:[1,1,0] neg_lo:[0,0,1] neg_hi:[0,0,1]
	v_pk_fma_f32 v[36:37], v[38:39], v[18:19], v[36:37] op_sel:[0,0,1] op_sel_hi:[1,0,0]
	v_fma_f32 v92, v83, 2.0, -v28
	v_mov_b32_e32 v41, v37
	s_waitcnt vmcnt(0)
	v_pk_mul_f32 v[36:37], v[32:33], v[24:25] op_sel:[0,1]
	v_mov_b32_e32 v97, v99
	v_pk_fma_f32 v[38:39], v[32:33], v[24:25], v[36:37] op_sel:[0,0,1] op_sel_hi:[1,1,0] neg_lo:[0,0,1] neg_hi:[0,0,1]
	v_pk_fma_f32 v[32:33], v[32:33], v[24:25], v[36:37] op_sel:[0,0,1] op_sel_hi:[1,0,0]
	v_fmamk_f32 v12, v12, 0xbf3504f3, v92
	v_mov_b32_e32 v32, v27
	v_mov_b32_e32 v39, v33
	v_pk_mul_f32 v[32:33], v[34:35], v[32:33] op_sel_hi:[1,0]
	v_pk_add_f32 v[38:39], v[108:109], v[38:39] neg_lo:[0,1] neg_hi:[0,1]
	v_pk_fma_f32 v[36:37], v[34:35], v[26:27], v[32:33] op_sel:[0,0,1] op_sel_hi:[1,1,0] neg_lo:[0,0,1] neg_hi:[0,0,1]
	v_pk_fma_f32 v[32:33], v[34:35], v[26:27], v[32:33] op_sel:[0,0,1] op_sel_hi:[1,0,0]
	v_pk_add_f32 v[82:83], v[94:95], v[30:31]
	v_mov_b32_e32 v37, v33
	v_pk_mul_f32 v[32:33], v[86:87], v[48:49] op_sel:[0,1]
	v_pk_add_f32 v[36:37], v[104:105], v[36:37] neg_lo:[0,1] neg_hi:[0,1]
	v_pk_fma_f32 v[34:35], v[86:87], v[48:49], v[32:33] op_sel:[0,0,1] op_sel_hi:[1,1,0] neg_lo:[0,0,1] neg_hi:[0,0,1]
	v_pk_fma_f32 v[32:33], v[86:87], v[48:49], v[32:33] op_sel:[0,0,1] op_sel_hi:[1,0,0]
	v_pk_fma_f32 v[86:87], v[108:109], 2.0, v[38:39] op_sel_hi:[1,0,1] neg_lo:[0,0,1] neg_hi:[0,0,1]
	v_mov_b32_e32 v35, v33
	v_pk_add_f32 v[32:33], v[84:85], v[40:41] neg_lo:[0,1] neg_hi:[0,1]
	v_pk_add_f32 v[34:35], v[42:43], v[34:35] neg_lo:[0,1] neg_hi:[0,1]
	v_pk_fma_f32 v[40:41], v[84:85], 2.0, v[32:33] op_sel_hi:[1,0,1] neg_lo:[0,0,1] neg_hi:[0,0,1]
	v_pk_fma_f32 v[84:85], v[104:105], 2.0, v[36:37] op_sel_hi:[1,0,1] neg_lo:[0,0,1] neg_hi:[0,0,1]
	;; [unrolled: 1-line block ×3, first 2 shown]
	v_pk_add_f32 v[84:85], v[40:41], v[84:85] neg_lo:[0,1] neg_hi:[0,1]
	v_pk_add_f32 v[42:43], v[86:87], v[42:43] neg_lo:[0,1] neg_hi:[0,1]
	v_pk_fma_f32 v[40:41], v[40:41], 2.0, v[84:85] op_sel_hi:[1,0,1] neg_lo:[0,0,1] neg_hi:[0,0,1]
	v_pk_fma_f32 v[86:87], v[86:87], 2.0, v[42:43] op_sel_hi:[1,0,1] neg_lo:[0,0,1] neg_hi:[0,0,1]
	v_fmamk_f32 v51, v103, 0x3f3504f3, v14
	v_pk_add_f32 v[86:87], v[40:41], v[86:87] neg_lo:[0,1] neg_hi:[0,1]
	v_pk_add_f32 v[46:47], v[96:97], v[88:89] neg_lo:[0,1] neg_hi:[0,1]
	v_pk_fma_f32 v[40:41], v[40:41], 2.0, v[86:87] op_sel_hi:[1,0,1] neg_lo:[0,0,1] neg_hi:[0,0,1]
	ds_write_b64 v107, v[40:41]
	v_pk_add_f32 v[40:41], v[32:33], v[36:37] op_sel:[0,1] op_sel_hi:[1,0] neg_lo:[0,1] neg_hi:[0,1]
	v_pk_add_f32 v[36:37], v[32:33], v[36:37] op_sel:[0,1] op_sel_hi:[1,0]
	s_nop 0
	v_mov_b32_e32 v41, v37
	v_pk_add_f32 v[36:37], v[38:39], v[34:35] op_sel:[0,1] op_sel_hi:[1,0] neg_lo:[0,1] neg_hi:[0,1]
	v_pk_add_f32 v[34:35], v[38:39], v[34:35] op_sel:[0,1] op_sel_hi:[1,0]
	v_pk_fma_f32 v[32:33], v[32:33], 2.0, v[40:41] op_sel_hi:[1,0,1] neg_lo:[0,0,1] neg_hi:[0,0,1]
	v_mov_b32_e32 v37, v35
	v_pk_fma_f32 v[34:35], v[38:39], 2.0, v[36:37] op_sel_hi:[1,0,1] neg_lo:[0,0,1] neg_hi:[0,0,1]
	s_nop 0
	v_pk_mul_f32 v[38:39], v[34:35], s[10:11] op_sel_hi:[1,0]
	v_pk_fma_f32 v[34:35], v[34:35], s[10:11], v[32:33] op_sel_hi:[1,0,1] neg_lo:[1,0,0] neg_hi:[1,0,0]
	s_nop 0
	v_pk_add_f32 v[104:105], v[34:35], v[38:39] op_sel:[0,1] op_sel_hi:[1,0] neg_lo:[0,1] neg_hi:[0,1]
	v_pk_add_f32 v[34:35], v[34:35], v[38:39] op_sel:[0,1] op_sel_hi:[1,0]
	v_pk_add_f32 v[38:39], v[84:85], v[42:43] op_sel:[0,1] op_sel_hi:[1,0]
	v_mov_b32_e32 v105, v35
	v_pk_add_f32 v[34:35], v[84:85], v[42:43] op_sel:[0,1] op_sel_hi:[1,0] neg_lo:[0,1] neg_hi:[0,1]
	v_pk_fma_f32 v[32:33], v[32:33], 2.0, v[104:105] op_sel_hi:[1,0,1] neg_lo:[0,0,1] neg_hi:[0,0,1]
	v_mov_b32_e32 v35, v39
	v_pk_fma_f32 v[38:39], v[84:85], 2.0, v[34:35] op_sel_hi:[1,0,1] neg_lo:[0,0,1] neg_hi:[0,0,1]
	ds_write2_b64 v106, v[32:33], v[38:39] offset0:13 offset1:26
	v_pk_mul_f32 v[32:33], v[36:37], s[10:11] op_sel_hi:[1,0]
	v_pk_fma_f32 v[36:37], v[36:37], s[10:11], v[40:41] op_sel_hi:[1,0,1]
	s_nop 0
	v_pk_add_f32 v[38:39], v[36:37], v[32:33] op_sel:[0,1] op_sel_hi:[1,0] neg_lo:[0,1] neg_hi:[0,1]
	v_pk_add_f32 v[32:33], v[36:37], v[32:33] op_sel:[0,1] op_sel_hi:[1,0]
	s_nop 0
	v_mov_b32_e32 v39, v33
	v_pk_fma_f32 v[32:33], v[40:41], 2.0, v[38:39] op_sel_hi:[1,0,1] neg_lo:[0,0,1] neg_hi:[0,0,1]
	ds_write2_b64 v106, v[32:33], v[86:87] offset0:39 offset1:52
	ds_write2_b64 v106, v[104:105], v[34:35] offset0:65 offset1:78
	ds_write_b64 v106, v[38:39] offset:728
	s_and_saveexec_b64 s[10:11], s[0:1]
	s_xor_b64 s[10:11], exec, s[10:11]
; %bb.6:
                                        ; implicit-def: $vgpr13
                                        ; implicit-def: $vgpr50
                                        ; implicit-def: $vgpr30
                                        ; implicit-def: $vgpr89
                                        ; implicit-def: $vgpr14_vgpr15
                                        ; implicit-def: $vgpr90_vgpr91
                                        ; implicit-def: $vgpr28_vgpr29
                                        ; implicit-def: $vgpr92
                                        ; implicit-def: $vgpr94_vgpr95
                                        ; implicit-def: $vgpr98_vgpr99
                                        ; implicit-def: $vgpr96_vgpr97
; %bb.7:
	s_or_saveexec_b64 s[10:11], s[10:11]
	v_lshl_add_u64 v[32:33], s[8:9], 0, v[80:81]
	v_fmac_f32_e32 v12, 0xbf3504f3, v102
	v_fmac_f32_e32 v51, 0x3f3504f3, v93
	s_xor_b64 exec, exec, s[10:11]
	s_cbranch_execz .LBB0_9
; %bb.8:
	v_fma_f32 v15, v90, 2.0, -v94
	v_fma_f32 v31, v50, 2.0, -v89
	v_sub_f32_e32 v31, v15, v31
	v_fma_f32 v35, v15, 2.0, -v31
	v_fma_f32 v15, v29, 2.0, -v99
	;; [unrolled: 1-line block ×3, first 2 shown]
	v_sub_f32_e32 v30, v15, v13
	v_mov_b32_e32 v93, v91
	v_mov_b32_e32 v13, v83
	v_fma_f32 v34, v15, 2.0, -v30
	v_pk_fma_f32 v[36:37], v[92:93], 2.0, v[12:13] op_sel_hi:[1,0,1] neg_lo:[0,0,1] neg_hi:[0,0,1]
	ds_write2_b64 v106, v[34:35], v[36:37] offset0:8 offset1:21
	v_mov_b32_e32 v34, v97
	v_mov_b32_e32 v35, v94
	;; [unrolled: 1-line block ×6, first 2 shown]
	v_pk_fma_f32 v[34:35], v[34:35], 2.0, v[36:37] op_sel_hi:[1,0,1] neg_lo:[0,0,1] neg_hi:[0,0,1]
	v_pk_fma_f32 v[14:15], v[28:29], 2.0, v[50:51] op_sel_hi:[1,0,1] neg_lo:[0,0,1] neg_hi:[0,0,1]
	ds_write2_b64 v106, v[34:35], v[14:15] offset0:34 offset1:47
	ds_write2_b64 v106, v[30:31], v[12:13] offset0:60 offset1:73
	;; [unrolled: 1-line block ×3, first 2 shown]
.LBB0_9:
	s_or_b64 exec, exec, s[10:11]
	s_waitcnt lgkmcnt(0)
	; wave barrier
	s_waitcnt lgkmcnt(0)
	global_load_dwordx2 v[14:15], v[32:33], off offset:832
	s_add_u32 s8, s8, 0x340
	s_addc_u32 s9, s9, 0
	global_load_dwordx2 v[88:89], v80, s[8:9] offset:64
	global_load_dwordx2 v[90:91], v80, s[8:9] offset:128
	;; [unrolled: 1-line block ×12, first 2 shown]
	ds_read_b64 v[28:29], v107
	v_lshl_add_u32 v108, v101, 3, v80
	s_mov_b32 s10, 0xbf29c268
	s_mov_b32 s8, 0xbf3f9e67
	;; [unrolled: 1-line block ×21, first 2 shown]
	s_waitcnt vmcnt(12) lgkmcnt(0)
	v_mul_f32_e32 v13, v29, v15
	v_mul_f32_e32 v31, v28, v15
	v_fma_f32 v30, v28, v14, -v13
	v_fmac_f32_e32 v31, v29, v14
	ds_write_b64 v107, v[30:31]
	ds_read2_b64 v[28:31], v106 offset0:16 offset1:24
	ds_read2_b64 v[32:35], v106 offset0:32 offset1:40
	ds_read_b64 v[14:15], v108 offset:64
	ds_read2_b64 v[36:39], v106 offset0:48 offset1:56
	ds_read2_b64 v[40:43], v106 offset0:64 offset1:72
	;; [unrolled: 1-line block ×3, first 2 shown]
	ds_read_b64 v[80:81], v106 offset:768
	s_waitcnt vmcnt(11) lgkmcnt(4)
	v_mul_f32_e32 v13, v15, v89
	v_mul_f32_e32 v119, v14, v89
	s_waitcnt vmcnt(10)
	v_mul_f32_e32 v50, v29, v91
	v_mul_f32_e32 v89, v28, v91
	s_waitcnt vmcnt(9)
	;; [unrolled: 3-line block ×4, first 2 shown]
	v_mul_f32_e32 v120, v35, v97
	v_mul_f32_e32 v95, v34, v97
	s_waitcnt vmcnt(6) lgkmcnt(3)
	v_mul_f32_e32 v121, v37, v99
	v_mul_f32_e32 v97, v36, v99
	s_waitcnt vmcnt(5)
	v_mul_f32_e32 v122, v39, v103
	v_mul_f32_e32 v99, v38, v103
	s_waitcnt vmcnt(4) lgkmcnt(2)
	v_mul_f32_e32 v123, v41, v105
	v_mul_f32_e32 v103, v40, v105
	s_waitcnt vmcnt(3)
	;; [unrolled: 6-line block ×3, first 2 shown]
	v_mul_f32_e32 v126, v87, v115
	v_mul_f32_e32 v113, v86, v115
	s_waitcnt vmcnt(0) lgkmcnt(0)
	v_mul_f32_e32 v127, v81, v117
	v_mul_f32_e32 v115, v80, v117
	v_fma_f32 v118, v14, v88, -v13
	v_fmac_f32_e32 v119, v15, v88
	v_fma_f32 v88, v28, v90, -v50
	v_fmac_f32_e32 v89, v29, v90
	;; [unrolled: 2-line block ×12, first 2 shown]
	ds_write_b64 v108, v[118:119] offset:64
	ds_write2_b64 v106, v[88:89], v[90:91] offset0:16 offset1:24
	ds_write2_b64 v106, v[92:93], v[94:95] offset0:32 offset1:40
	;; [unrolled: 1-line block ×5, first 2 shown]
	ds_write_b64 v106, v[114:115] offset:768
	s_waitcnt lgkmcnt(0)
	; wave barrier
	s_waitcnt lgkmcnt(0)
	ds_read2_b64 v[94:97], v106 offset0:16 offset1:24
	ds_read_b64 v[14:15], v107
	ds_read_b64 v[98:99], v106 offset:768
	ds_read_b64 v[42:43], v108 offset:64
	ds_read2_b64 v[32:35], v106 offset0:32 offset1:40
	ds_read2_b64 v[28:31], v106 offset0:48 offset1:56
	;; [unrolled: 1-line block ×4, first 2 shown]
	s_waitcnt lgkmcnt(4)
	v_pk_add_f32 v[110:111], v[14:15], v[42:43]
	v_pk_add_f32 v[40:41], v[98:99], v[42:43]
	v_pk_add_f32 v[42:43], v[42:43], v[98:99] neg_lo:[0,1] neg_hi:[0,1]
	s_waitcnt lgkmcnt(1)
	v_pk_add_f32 v[92:93], v[32:33], v[38:39] neg_lo:[0,1] neg_hi:[0,1]
	v_pk_mul_f32 v[80:81], v[42:43], s[10:11] op_sel_hi:[1,0]
	s_waitcnt lgkmcnt(0)
	v_pk_add_f32 v[84:85], v[94:95], v[104:105] neg_lo:[0,1] neg_hi:[0,1]
	v_pk_fma_f32 v[112:113], v[40:41], s[8:9], v[80:81] op_sel:[0,0,1] op_sel_hi:[1,0,0]
	v_pk_fma_f32 v[114:115], v[40:41], s[8:9], v[80:81] op_sel:[0,0,1] op_sel_hi:[1,0,0] neg_lo:[0,0,1] neg_hi:[0,0,1]
	v_pk_add_f32 v[80:81], v[104:105], v[94:95]
	v_pk_mul_f32 v[86:87], v[84:85], s[16:17] op_sel_hi:[1,0]
	v_pk_add_f32 v[88:89], v[96:97], v[102:103] neg_lo:[0,1] neg_hi:[0,1]
	v_pk_add_f32 v[94:95], v[110:111], v[94:95]
	v_pk_fma_f32 v[118:119], v[80:81], s[20:21], v[86:87] op_sel:[0,0,1] op_sel_hi:[1,0,0]
	v_pk_fma_f32 v[120:121], v[80:81], s[20:21], v[86:87] op_sel:[0,0,1] op_sel_hi:[1,0,0] neg_lo:[0,0,1] neg_hi:[0,0,1]
	v_pk_add_f32 v[86:87], v[102:103], v[96:97]
	v_pk_mul_f32 v[90:91], v[88:89], s[18:19] op_sel_hi:[1,0]
	v_pk_add_f32 v[94:95], v[94:95], v[96:97]
	v_pk_fma_f32 v[124:125], v[86:87], s[12:13], v[90:91] op_sel:[0,0,1] op_sel_hi:[1,0,0]
	v_pk_fma_f32 v[126:127], v[86:87], s[12:13], v[90:91] op_sel:[0,0,1] op_sel_hi:[1,0,0] neg_lo:[0,0,1] neg_hi:[0,0,1]
	v_pk_add_f32 v[90:91], v[38:39], v[32:33]
	v_pk_add_f32 v[32:33], v[94:95], v[32:33]
	v_mov_b32_e32 v116, v112
	v_pk_add_f32 v[32:33], v[32:33], v[34:35]
	v_mov_b32_e32 v117, v115
	;; [unrolled: 2-line block ×4, first 2 shown]
	v_pk_add_f32 v[32:33], v[32:33], v[36:37]
	s_mov_b32 s13, s18
	v_pk_add_f32 v[32:33], v[32:33], v[38:39]
	v_pk_add_f32 v[94:95], v[14:15], v[116:117]
	;; [unrolled: 1-line block ×3, first 2 shown]
	v_mov_b32_e32 v102, v40
	v_pk_add_f32 v[32:33], v[32:33], v[104:105]
	v_mov_b32_e32 v103, v42
	v_pk_add_f32 v[32:33], v[32:33], v[98:99]
	v_mov_b32_e32 v98, v43
	v_mov_b32_e32 v99, v41
	v_pk_mul_f32 v[104:105], v[102:103], s[26:27]
	v_mov_b32_e32 v116, v85
	v_pk_fma_f32 v[38:39], v[98:99], s[24:25], v[104:105] neg_lo:[1,0,0] neg_hi:[1,0,0]
	v_pk_fma_f32 v[110:111], v[98:99], s[24:25], v[104:105]
	v_mov_b32_e32 v117, v81
	s_mov_b32 s19, s12
	v_pk_mul_f32 v[138:139], v[136:137], s[12:13]
	v_mov_b32_e32 v39, v111
	v_pk_fma_f32 v[96:97], v[116:117], s[18:19], v[138:139] neg_lo:[1,0,0] neg_hi:[1,0,0]
	v_pk_fma_f32 v[140:141], v[116:117], s[18:19], v[138:139]
	v_pk_add_f32 v[38:39], v[14:15], v[38:39]
	v_mov_b32_e32 v97, v141
	v_mov_b32_e32 v115, v113
	;; [unrolled: 1-line block ×4, first 2 shown]
	v_pk_add_f32 v[38:39], v[96:97], v[38:39]
	v_mov_b32_e32 v121, v119
	v_pk_add_f32 v[96:97], v[14:15], v[114:115]
	v_mov_b32_e32 v118, v86
	v_mov_b32_e32 v119, v88
	s_mov_b32 s21, s36
	v_pk_add_f32 v[112:113], v[120:121], v[96:97]
	v_mov_b32_e32 v114, v89
	v_mov_b32_e32 v115, v87
	v_pk_mul_f32 v[120:121], v[118:119], s[20:21]
	s_mov_b32 s26, 0xbf6f5d39
	v_pk_add_f32 v[94:95], v[122:123], v[94:95]
	v_pk_fma_f32 v[96:97], v[114:115], s[36:37], v[120:121] neg_lo:[1,0,0] neg_hi:[1,0,0]
	v_pk_fma_f32 v[122:123], v[114:115], s[36:37], v[120:121]
	s_mov_b32 s27, 0xbeb58ec6
	v_mov_b32_e32 v128, v124
	v_mov_b32_e32 v129, v127
	;; [unrolled: 1-line block ×5, first 2 shown]
	s_mov_b32 s34, s27
	s_mov_b32 s35, s26
	v_pk_mul_f32 v[130:131], v[92:93], s[22:23] op_sel_hi:[1,0]
	v_pk_add_f32 v[38:39], v[96:97], v[38:39]
	v_pk_add_f32 v[96:97], v[128:129], v[94:95]
	v_mov_b32_e32 v128, v93
	v_mov_b32_e32 v129, v91
	v_pk_mul_f32 v[144:145], v[142:143], s[34:35]
	v_pk_fma_f32 v[132:133], v[90:91], s[14:15], v[130:131] op_sel:[0,0,1] op_sel_hi:[1,0,0]
	v_pk_fma_f32 v[130:131], v[90:91], s[14:15], v[130:131] op_sel:[0,0,1] op_sel_hi:[1,0,0] neg_lo:[0,0,1] neg_hi:[0,0,1]
	v_pk_fma_f32 v[94:95], v[128:129], s[26:27], v[144:145] neg_lo:[1,0,0] neg_hi:[1,0,0]
	v_pk_fma_f32 v[146:147], v[128:129], s[26:27], v[144:145]
	v_mov_b32_e32 v134, v132
	v_mov_b32_e32 v135, v131
	;; [unrolled: 1-line block ×3, first 2 shown]
	v_pk_add_f32 v[94:95], v[94:95], v[38:39]
	v_pk_add_f32 v[38:39], v[134:135], v[96:97]
	v_pk_mul_f32 v[134:135], v[102:103], s[12:13]
	v_pk_mul_f32 v[150:151], v[136:137], s[34:35]
	v_pk_fma_f32 v[96:97], v[98:99], s[18:19], v[134:135] neg_lo:[1,0,0] neg_hi:[1,0,0]
	v_pk_fma_f32 v[148:149], v[98:99], s[18:19], v[134:135]
	s_mov_b32 s15, s28
	v_mov_b32_e32 v97, v149
	v_pk_fma_f32 v[152:153], v[116:117], s[26:27], v[150:151] neg_lo:[1,0,0] neg_hi:[1,0,0]
	v_pk_fma_f32 v[154:155], v[116:117], s[26:27], v[150:151]
	v_pk_mul_f32 v[156:157], v[118:119], s[14:15]
	s_mov_b32 s9, s40
	v_mov_b32_e32 v153, v155
	v_pk_fma_f32 v[158:159], v[114:115], s[28:29], v[156:157] neg_lo:[1,0,0] neg_hi:[1,0,0]
	v_pk_fma_f32 v[160:161], v[114:115], s[28:29], v[156:157]
	v_pk_mul_f32 v[162:163], v[142:143], s[8:9]
	v_pk_add_f32 v[96:97], v[14:15], v[96:97]
	v_mov_b32_e32 v159, v161
	v_pk_fma_f32 v[164:165], v[128:129], s[40:41], v[162:163] neg_lo:[1,0,0] neg_hi:[1,0,0]
	v_pk_fma_f32 v[166:167], v[128:129], s[40:41], v[162:163]
	v_pk_add_f32 v[96:97], v[152:153], v[96:97]
	v_pk_fma_f32 v[104:105], v[98:99], s[24:25], v[104:105] neg_lo:[0,0,1] neg_hi:[0,0,1]
	v_mov_b32_e32 v165, v167
	v_pk_add_f32 v[96:97], v[158:159], v[96:97]
	v_pk_mul_f32 v[152:153], v[102:103], s[20:21]
	s_mov_b32 s30, s27
	v_mov_b32_e32 v111, v105
	v_pk_add_f32 v[96:97], v[164:165], v[96:97]
	v_pk_fma_f32 v[158:159], v[98:99], s[36:37], v[152:153] neg_lo:[1,0,0] neg_hi:[1,0,0]
	v_pk_fma_f32 v[164:165], v[98:99], s[36:37], v[152:153]
	v_pk_mul_f32 v[168:169], v[136:137], s[14:15]
	v_pk_mul_f32 v[174:175], v[118:119], s[30:31]
	s_mov_b32 s30, 0x3eedf032
	v_pk_add_f32 v[104:105], v[14:15], v[110:111]
	v_pk_fma_f32 v[110:111], v[116:117], s[18:19], v[138:139] neg_lo:[0,0,1] neg_hi:[0,0,1]
	v_mov_b32_e32 v159, v165
	v_pk_fma_f32 v[170:171], v[116:117], s[28:29], v[168:169] neg_lo:[1,0,0] neg_hi:[1,0,0]
	v_pk_fma_f32 v[172:173], v[116:117], s[28:29], v[168:169]
	s_mov_b32 s43, s27
	s_mov_b32 s39, s30
	v_mov_b32_e32 v141, v111
	v_pk_fma_f32 v[110:111], v[114:115], s[36:37], v[120:121] neg_lo:[0,0,1] neg_hi:[0,0,1]
	v_pk_fma_f32 v[120:121], v[98:99], s[36:37], v[152:153] neg_lo:[0,0,1] neg_hi:[0,0,1]
	v_mov_b32_e32 v171, v173
	v_pk_fma_f32 v[176:177], v[114:115], s[42:43], v[174:175] neg_lo:[1,0,0] neg_hi:[1,0,0]
	v_pk_fma_f32 v[178:179], v[114:115], s[42:43], v[174:175]
	s_mov_b32 s31, s25
	v_pk_mul_f32 v[180:181], v[142:143], s[38:39]
	v_pk_add_f32 v[158:159], v[14:15], v[158:159]
	v_mov_b32_e32 v165, v121
	v_pk_fma_f32 v[120:121], v[116:117], s[28:29], v[168:169] neg_lo:[0,0,1] neg_hi:[0,0,1]
	v_mov_b32_e32 v177, v179
	v_pk_fma_f32 v[182:183], v[128:129], s[30:31], v[180:181] neg_lo:[1,0,0] neg_hi:[1,0,0]
	v_pk_fma_f32 v[184:185], v[128:129], s[30:31], v[180:181]
	v_pk_add_f32 v[158:159], v[170:171], v[158:159]
	v_pk_mul_f32 v[102:103], v[102:103], s[34:35]
	v_mov_b32_e32 v123, v111
	v_pk_fma_f32 v[110:111], v[128:129], s[26:27], v[144:145] neg_lo:[0,0,1] neg_hi:[0,0,1]
	v_mov_b32_e32 v173, v121
	v_pk_fma_f32 v[120:121], v[114:115], s[42:43], v[174:175] neg_lo:[0,0,1] neg_hi:[0,0,1]
	v_mov_b32_e32 v183, v185
	v_pk_add_f32 v[158:159], v[176:177], v[158:159]
	v_pk_fma_f32 v[170:171], v[98:99], s[26:27], v[102:103] neg_lo:[1,0,0] neg_hi:[1,0,0]
	v_pk_fma_f32 v[176:177], v[98:99], s[26:27], v[102:103]
	v_pk_mul_f32 v[136:137], v[136:137], s[8:9]
	v_mov_b32_e32 v147, v111
	v_pk_fma_f32 v[110:111], v[98:99], s[18:19], v[134:135] neg_lo:[0,0,1] neg_hi:[0,0,1]
	v_mov_b32_e32 v179, v121
	v_pk_fma_f32 v[120:121], v[128:129], s[30:31], v[180:181] neg_lo:[0,0,1] neg_hi:[0,0,1]
	v_pk_fma_f32 v[98:99], v[98:99], s[26:27], v[102:103] neg_lo:[0,0,1] neg_hi:[0,0,1]
	v_pk_add_f32 v[102:103], v[36:37], v[34:35]
	v_pk_add_f32 v[34:35], v[34:35], v[36:37] neg_lo:[0,1] neg_hi:[0,1]
	v_pk_add_f32 v[158:159], v[182:183], v[158:159]
	v_mov_b32_e32 v171, v177
	v_pk_fma_f32 v[182:183], v[116:117], s[40:41], v[136:137] neg_lo:[1,0,0] neg_hi:[1,0,0]
	v_pk_fma_f32 v[186:187], v[116:117], s[40:41], v[136:137]
	v_pk_mul_f32 v[118:119], v[118:119], s[38:39]
	v_pk_add_f32 v[104:105], v[140:141], v[104:105]
	v_mov_b32_e32 v149, v111
	v_pk_fma_f32 v[110:111], v[116:117], s[26:27], v[150:151] neg_lo:[0,0,1] neg_hi:[0,0,1]
	v_mov_b32_e32 v185, v121
	v_pk_add_f32 v[120:121], v[14:15], v[164:165]
	v_mov_b32_e32 v177, v99
	v_pk_fma_f32 v[98:99], v[116:117], s[40:41], v[136:137] neg_lo:[0,0,1] neg_hi:[0,0,1]
	s_mov_b32 s24, s27
	v_pk_mul_f32 v[36:37], v[34:35], s[26:27] op_sel_hi:[1,0]
	v_mov_b32_e32 v183, v187
	v_pk_fma_f32 v[188:189], v[114:115], s[30:31], v[118:119] neg_lo:[1,0,0] neg_hi:[1,0,0]
	v_pk_fma_f32 v[190:191], v[114:115], s[30:31], v[118:119]
	v_pk_mul_f32 v[142:143], v[142:143], s[20:21]
	v_mov_b32_e32 v127, v125
	v_pk_add_f32 v[104:105], v[122:123], v[104:105]
	v_mov_b32_e32 v155, v111
	v_pk_fma_f32 v[110:111], v[114:115], s[28:29], v[156:157] neg_lo:[0,0,1] neg_hi:[0,0,1]
	v_pk_add_f32 v[120:121], v[172:173], v[120:121]
	v_mov_b32_e32 v187, v99
	v_pk_fma_f32 v[98:99], v[114:115], s[30:31], v[118:119] neg_lo:[0,0,1] neg_hi:[0,0,1]
	v_pk_fma_f32 v[114:115], v[102:103], s[24:25], v[36:37] op_sel:[0,0,1] op_sel_hi:[1,0,0]
	v_pk_fma_f32 v[36:37], v[102:103], s[24:25], v[36:37] op_sel:[0,0,1] op_sel_hi:[1,0,0] neg_lo:[0,0,1] neg_hi:[0,0,1]
	v_pk_add_f32 v[118:119], v[30:31], v[28:29]
	v_pk_add_f32 v[28:29], v[28:29], v[30:31] neg_lo:[0,1] neg_hi:[0,1]
	v_mov_b32_e32 v123, v103
	v_mov_b32_e32 v103, v34
	s_mov_b32 s9, s10
	s_mov_b32 s17, s20
	v_mov_b32_e32 v189, v191
	v_pk_fma_f32 v[192:193], v[128:129], s[36:37], v[142:143] neg_lo:[1,0,0] neg_hi:[1,0,0]
	v_pk_fma_f32 v[194:195], v[128:129], s[36:37], v[142:143]
	v_pk_add_f32 v[112:113], v[126:127], v[112:113]
	v_mov_b32_e32 v131, v133
	v_mov_b32_e32 v161, v111
	v_pk_fma_f32 v[110:111], v[128:129], s[40:41], v[162:163] neg_lo:[0,0,1] neg_hi:[0,0,1]
	v_pk_add_f32 v[120:121], v[178:179], v[120:121]
	v_mov_b32_e32 v191, v99
	v_pk_fma_f32 v[98:99], v[128:129], s[36:37], v[142:143] neg_lo:[0,0,1] neg_hi:[0,0,1]
	v_mov_b32_e32 v122, v35
	s_mov_b32 s11, s8
	v_pk_mul_f32 v[30:31], v[102:103], s[8:9]
	v_mov_b32_e32 v126, v29
	v_mov_b32_e32 v128, v118
	;; [unrolled: 1-line block ×3, first 2 shown]
	s_mov_b32 s21, s16
	v_pk_mul_f32 v[28:29], v[28:29], s[16:17] op_sel_hi:[1,0]
	v_pk_add_f32 v[112:113], v[130:131], v[112:113]
	v_pk_add_f32 v[120:121], v[184:185], v[120:121]
	v_pk_fma_f32 v[34:35], v[122:123], s[10:11], v[30:31] neg_lo:[1,0,0] neg_hi:[1,0,0]
	v_pk_fma_f32 v[124:125], v[122:123], s[10:11], v[30:31]
	v_mov_b32_e32 v127, v119
	v_pk_mul_f32 v[130:131], v[128:129], s[14:15]
	v_pk_fma_f32 v[184:185], v[118:119], s[20:21], v[28:29] op_sel:[0,0,1] op_sel_hi:[1,0,0]
	v_pk_fma_f32 v[118:119], v[118:119], s[20:21], v[28:29] op_sel:[0,0,1] op_sel_hi:[1,0,0] neg_lo:[0,0,1] neg_hi:[0,0,1]
	v_pk_fma_f32 v[28:29], v[122:123], s[10:11], v[30:31] neg_lo:[0,0,1] neg_hi:[0,0,1]
	v_mov_b32_e32 v35, v125
	v_pk_fma_f32 v[132:133], v[126:127], s[28:29], v[130:131] neg_lo:[1,0,0] neg_hi:[1,0,0]
	v_pk_fma_f32 v[134:135], v[126:127], s[28:29], v[130:131]
	v_pk_mul_f32 v[136:137], v[102:103], s[20:21]
	v_mov_b32_e32 v125, v29
	v_pk_fma_f32 v[28:29], v[126:127], s[28:29], v[130:131] neg_lo:[0,0,1] neg_hi:[0,0,1]
	v_mov_b32_e32 v133, v135
	v_pk_fma_f32 v[138:139], v[122:123], s[16:17], v[136:137] neg_lo:[1,0,0] neg_hi:[1,0,0]
	v_pk_fma_f32 v[140:141], v[122:123], s[16:17], v[136:137]
	v_pk_mul_f32 v[142:143], v[128:129], s[38:39]
	v_mov_b32_e32 v135, v29
	v_pk_fma_f32 v[28:29], v[122:123], s[16:17], v[136:137] neg_lo:[0,0,1] neg_hi:[0,0,1]
	v_pk_add_f32 v[104:105], v[146:147], v[104:105]
	v_mov_b32_e32 v167, v111
	v_pk_add_f32 v[110:111], v[14:15], v[148:149]
	v_mov_b32_e32 v139, v141
	v_pk_fma_f32 v[144:145], v[126:127], s[30:31], v[142:143] neg_lo:[1,0,0] neg_hi:[1,0,0]
	v_pk_fma_f32 v[146:147], v[126:127], s[30:31], v[142:143]
	v_pk_mul_f32 v[148:149], v[102:103], s[12:13]
	v_mov_b32_e32 v141, v29
	v_pk_fma_f32 v[28:29], v[126:127], s[30:31], v[142:143] neg_lo:[0,0,1] neg_hi:[0,0,1]
	v_pk_add_f32 v[110:111], v[154:155], v[110:111]
	v_mov_b32_e32 v145, v147
	v_pk_fma_f32 v[150:151], v[122:123], s[18:19], v[148:149] neg_lo:[1,0,0] neg_hi:[1,0,0]
	v_pk_fma_f32 v[152:153], v[122:123], s[18:19], v[148:149]
	v_pk_mul_f32 v[154:155], v[128:129], s[8:9]
	s_mov_b32 s15, s22
	s_mov_b32 s36, 0x3f52af12
	v_mov_b32_e32 v147, v29
	v_pk_fma_f32 v[28:29], v[122:123], s[18:19], v[148:149] neg_lo:[0,0,1] neg_hi:[0,0,1]
	v_pk_add_f32 v[110:111], v[160:161], v[110:111]
	v_mov_b32_e32 v151, v153
	v_pk_fma_f32 v[156:157], v[126:127], s[10:11], v[154:155] neg_lo:[1,0,0] neg_hi:[1,0,0]
	v_pk_fma_f32 v[160:161], v[126:127], s[10:11], v[154:155]
	s_mov_b32 s23, s14
	v_pk_mul_f32 v[162:163], v[102:103], s[14:15]
	s_mov_b32 s13, s36
	v_mov_b32_e32 v153, v29
	v_pk_fma_f32 v[28:29], v[126:127], s[10:11], v[154:155] neg_lo:[0,0,1] neg_hi:[0,0,1]
	v_pk_add_f32 v[110:111], v[166:167], v[110:111]
	v_mov_b32_e32 v157, v161
	v_pk_fma_f32 v[164:165], v[122:123], s[22:23], v[162:163] neg_lo:[1,0,0] neg_hi:[1,0,0]
	v_pk_fma_f32 v[166:167], v[122:123], s[22:23], v[162:163]
	s_mov_b32 s37, s12
	v_pk_mul_f32 v[168:169], v[128:129], s[12:13]
	v_mov_b32_e32 v161, v29
	v_pk_fma_f32 v[28:29], v[122:123], s[22:23], v[162:163] neg_lo:[0,0,1] neg_hi:[0,0,1]
	v_mov_b32_e32 v165, v167
	v_pk_fma_f32 v[172:173], v[126:127], s[36:37], v[168:169] neg_lo:[1,0,0] neg_hi:[1,0,0]
	v_pk_fma_f32 v[174:175], v[126:127], s[36:37], v[168:169]
	v_mov_b32_e32 v167, v29
	v_pk_fma_f32 v[28:29], v[126:127], s[36:37], v[168:169] neg_lo:[0,0,1] neg_hi:[0,0,1]
	v_mov_b32_e32 v173, v175
	v_mov_b32_e32 v175, v29
	v_pk_mul_f32 v[28:29], v[42:43], s[28:29] op_sel_hi:[1,0]
	v_pk_mul_f32 v[30:31], v[84:85], s[30:31] op_sel_hi:[1,0]
	v_pk_fma_f32 v[42:43], v[40:41], s[14:15], v[28:29] op_sel:[0,0,1] op_sel_hi:[1,0,0]
	v_pk_fma_f32 v[40:41], v[40:41], s[14:15], v[28:29] op_sel:[0,0,1] op_sel_hi:[1,0,0] neg_lo:[0,0,1] neg_hi:[0,0,1]
	s_mov_b32 s14, s25
	v_pk_add_f32 v[170:171], v[14:15], v[170:171]
	v_mov_b32_e32 v28, v42
	v_mov_b32_e32 v29, v41
	v_pk_fma_f32 v[130:131], v[80:81], s[14:15], v[30:31] op_sel:[0,0,1] op_sel_hi:[1,0,0]
	v_pk_fma_f32 v[136:137], v[80:81], s[14:15], v[30:31] op_sel:[0,0,1] op_sel_hi:[1,0,0] neg_lo:[0,0,1] neg_hi:[0,0,1]
	v_pk_mul_f32 v[80:81], v[88:89], s[10:11] op_sel_hi:[1,0]
	v_pk_add_f32 v[170:171], v[182:183], v[170:171]
	v_pk_mul_f32 v[128:129], v[128:129], s[34:35]
	v_mov_b32_e32 v30, v130
	v_mov_b32_e32 v31, v137
	v_pk_fma_f32 v[88:89], v[86:87], s[8:9], v[80:81] op_sel:[0,0,1] op_sel_hi:[1,0,0]
	v_pk_fma_f32 v[142:143], v[86:87], s[8:9], v[80:81] op_sel:[0,0,1] op_sel_hi:[1,0,0] neg_lo:[0,0,1] neg_hi:[0,0,1]
	v_pk_add_f32 v[28:29], v[14:15], v[28:29]
	v_mov_b32_e32 v193, v195
	v_pk_add_f32 v[170:171], v[188:189], v[170:171]
	v_pk_fma_f32 v[180:181], v[126:127], s[26:27], v[128:129] neg_lo:[1,0,0] neg_hi:[1,0,0]
	v_pk_fma_f32 v[182:183], v[126:127], s[26:27], v[128:129]
	v_mov_b32_e32 v80, v88
	v_mov_b32_e32 v81, v143
	v_pk_mul_f32 v[84:85], v[92:93], s[36:37] op_sel_hi:[1,0]
	v_pk_add_f32 v[28:29], v[30:31], v[28:29]
	v_pk_add_f32 v[30:31], v[34:35], v[94:95]
	v_pk_fma_f32 v[94:95], v[126:127], s[26:27], v[128:129] neg_lo:[0,0,1] neg_hi:[0,0,1]
	v_mov_b32_e32 v41, v43
	v_pk_add_f32 v[170:171], v[192:193], v[170:171]
	v_mov_b32_e32 v195, v99
	v_pk_add_f32 v[98:99], v[14:15], v[176:177]
	v_mov_b32_e32 v181, v183
	v_pk_fma_f32 v[92:93], v[90:91], s[12:13], v[84:85] op_sel:[0,0,1] op_sel_hi:[1,0,0]
	v_pk_fma_f32 v[90:91], v[90:91], s[12:13], v[84:85] op_sel:[0,0,1] op_sel_hi:[1,0,0] neg_lo:[0,0,1] neg_hi:[0,0,1]
	v_pk_add_f32 v[28:29], v[80:81], v[28:29]
	v_pk_add_f32 v[80:81], v[150:151], v[158:159]
	v_mov_b32_e32 v183, v95
	v_pk_add_f32 v[94:95], v[124:125], v[104:105]
	v_mov_b32_e32 v137, v131
	v_pk_add_f32 v[14:15], v[14:15], v[40:41]
	v_pk_add_f32 v[98:99], v[186:187], v[98:99]
	v_pk_mul_f32 v[102:103], v[102:103], s[38:39]
	v_mov_b32_e32 v84, v92
	v_mov_b32_e32 v85, v91
	v_pk_add_f32 v[86:87], v[156:157], v[80:81]
	v_pk_add_f32 v[80:81], v[164:165], v[170:171]
	;; [unrolled: 1-line block ×3, first 2 shown]
	v_mov_b32_e32 v143, v89
	v_pk_add_f32 v[14:15], v[136:137], v[14:15]
	s_waitcnt lgkmcnt(0)
	; wave barrier
	v_pk_add_f32 v[98:99], v[190:191], v[98:99]
	v_pk_fma_f32 v[176:177], v[122:123], s[30:31], v[102:103] neg_lo:[1,0,0] neg_hi:[1,0,0]
	v_pk_fma_f32 v[178:179], v[122:123], s[30:31], v[102:103]
	v_pk_add_f32 v[28:29], v[84:85], v[28:29]
	v_pk_add_f32 v[84:85], v[172:173], v[80:81]
	v_pk_fma_f32 v[80:81], v[122:123], s[30:31], v[102:103] neg_lo:[0,0,1] neg_hi:[0,0,1]
	ds_write2_b64 v100, v[32:33], v[94:95] offset1:1
	v_pk_add_f32 v[32:33], v[140:141], v[110:111]
	v_pk_add_f32 v[94:95], v[152:153], v[120:121]
	v_mov_b32_e32 v91, v93
	v_pk_add_f32 v[14:15], v[142:143], v[14:15]
	v_pk_add_f32 v[98:99], v[194:195], v[98:99]
	v_mov_b32_e32 v116, v114
	v_mov_b32_e32 v117, v37
	;; [unrolled: 1-line block ×4, first 2 shown]
	v_pk_add_f32 v[32:33], v[146:147], v[32:33]
	v_pk_add_f32 v[94:95], v[160:161], v[94:95]
	v_mov_b32_e32 v37, v115
	v_pk_add_f32 v[14:15], v[90:91], v[14:15]
	v_mov_b32_e32 v186, v184
	v_mov_b32_e32 v187, v119
	v_pk_add_f32 v[34:35], v[116:117], v[28:29]
	v_pk_add_f32 v[38:39], v[178:179], v[38:39]
	ds_write2_b64 v100, v[32:33], v[94:95] offset0:2 offset1:3
	v_pk_add_f32 v[32:33], v[166:167], v[98:99]
	v_mov_b32_e32 v119, v185
	v_pk_add_f32 v[14:15], v[36:37], v[14:15]
	v_pk_add_f32 v[28:29], v[138:139], v[96:97]
	;; [unrolled: 1-line block ×10, first 2 shown]
	ds_write2_b64 v100, v[32:33], v[38:39] offset0:4 offset1:5
	ds_write2_b64 v100, v[34:35], v[14:15] offset0:6 offset1:7
	;; [unrolled: 1-line block ×4, first 2 shown]
	ds_write_b64 v100, v[30:31] offset:96
	s_waitcnt lgkmcnt(0)
	; wave barrier
	s_waitcnt lgkmcnt(0)
	ds_read2_b64 v[40:43], v106 offset0:13 offset1:26
	ds_read2_b64 v[36:39], v106 offset0:39 offset1:52
	;; [unrolled: 1-line block ×3, first 2 shown]
	ds_read_b64 v[88:89], v107
	ds_read_b64 v[90:91], v106 offset:728
	s_and_saveexec_b64 s[8:9], s[0:1]
	s_xor_b64 s[0:1], exec, s[8:9]
	s_or_saveexec_b64 s[0:1], s[0:1]
	v_mov_b32_e32 v104, v20
	v_mov_b32_e32 v105, v20
	;; [unrolled: 1-line block ×21, first 2 shown]
	s_xor_b64 exec, exec, s[0:1]
	s_cbranch_execz .LBB0_11
; %bb.10:
	ds_read2_b64 v[12:15], v106 offset0:73 offset1:86
	ds_read_b64 v[80:81], v108 offset:64
	ds_read_b64 v[50:51], v106 offset:792
	ds_read2_b64 v[84:87], v106 offset0:21 offset1:34
	ds_read2_b64 v[28:31], v106 offset0:47 offset1:60
	s_waitcnt lgkmcnt(4)
	v_mov_b32_e32 v82, v15
	v_mov_b32_e32 v83, v13
	s_waitcnt lgkmcnt(2)
	v_mov_b32_e32 v46, v50
	v_mov_b32_e32 v47, v14
.LBB0_11:
	s_or_b64 exec, exec, s[0:1]
	s_waitcnt lgkmcnt(4)
	v_pk_mul_f32 v[14:15], v[20:21], v[40:41]
	v_pk_mul_f32 v[20:21], v[22:23], v[42:43]
	s_waitcnt lgkmcnt(2)
	v_pk_mul_f32 v[22:23], v[24:25], v[32:33]
	v_pk_mul_f32 v[24:25], v[26:27], v[34:35]
	s_waitcnt lgkmcnt(0)
	v_pk_mul_f32 v[26:27], v[48:49], v[90:91]
	v_pk_fma_f32 v[48:49], v[104:105], v[40:41], v[14:15] op_sel:[0,0,1] op_sel_hi:[1,1,0]
	v_pk_fma_f32 v[14:15], v[104:105], v[40:41], v[14:15] op_sel:[0,0,1] op_sel_hi:[1,1,0] neg_lo:[0,0,1] neg_hi:[0,0,1]
	v_pk_mul_f32 v[16:17], v[16:17], v[36:37]
	v_mov_b32_e32 v49, v15
	v_pk_fma_f32 v[14:15], v[102:103], v[42:43], v[20:21] op_sel:[0,0,1] op_sel_hi:[1,1,0]
	v_pk_fma_f32 v[20:21], v[102:103], v[42:43], v[20:21] op_sel:[0,0,1] op_sel_hi:[1,1,0] neg_lo:[0,0,1] neg_hi:[0,0,1]
	v_pk_mul_f32 v[18:19], v[18:19], v[38:39]
	v_mov_b32_e32 v15, v21
	v_pk_fma_f32 v[20:21], v[100:101], v[36:37], v[16:17] op_sel:[0,0,1] op_sel_hi:[1,1,0]
	v_pk_fma_f32 v[16:17], v[100:101], v[36:37], v[16:17] op_sel:[0,0,1] op_sel_hi:[1,1,0] neg_lo:[0,0,1] neg_hi:[0,0,1]
	s_mov_b32 s0, 0x3f3504f3
	v_mov_b32_e32 v21, v17
	v_pk_fma_f32 v[16:17], v[98:99], v[38:39], v[18:19] op_sel:[0,0,1] op_sel_hi:[1,1,0]
	v_pk_fma_f32 v[18:19], v[98:99], v[38:39], v[18:19] op_sel:[0,0,1] op_sel_hi:[1,1,0] neg_lo:[0,0,1] neg_hi:[0,0,1]
	s_nop 0
	v_mov_b32_e32 v17, v19
	v_pk_fma_f32 v[18:19], v[96:97], v[32:33], v[22:23] op_sel:[0,0,1] op_sel_hi:[1,1,0]
	v_pk_fma_f32 v[22:23], v[96:97], v[32:33], v[22:23] op_sel:[0,0,1] op_sel_hi:[1,1,0] neg_lo:[0,0,1] neg_hi:[0,0,1]
	v_pk_add_f32 v[16:17], v[88:89], v[16:17] neg_lo:[0,1] neg_hi:[0,1]
	v_mov_b32_e32 v19, v23
	v_pk_fma_f32 v[22:23], v[94:95], v[34:35], v[24:25] op_sel:[0,0,1] op_sel_hi:[1,1,0]
	v_pk_fma_f32 v[24:25], v[94:95], v[34:35], v[24:25] op_sel:[0,0,1] op_sel_hi:[1,1,0] neg_lo:[0,0,1] neg_hi:[0,0,1]
	v_pk_add_f32 v[18:19], v[48:49], v[18:19] neg_lo:[0,1] neg_hi:[0,1]
	;; [unrolled: 4-line block ×3, first 2 shown]
	v_mov_b32_e32 v25, v27
	v_pk_add_f32 v[24:25], v[20:21], v[24:25] neg_lo:[0,1] neg_hi:[0,1]
	v_pk_fma_f32 v[26:27], v[88:89], 2.0, v[16:17] op_sel_hi:[1,0,1] neg_lo:[0,0,1] neg_hi:[0,0,1]
	v_pk_fma_f32 v[14:15], v[14:15], 2.0, v[22:23] op_sel_hi:[1,0,1] neg_lo:[0,0,1] neg_hi:[0,0,1]
	v_pk_fma_f32 v[32:33], v[48:49], 2.0, v[18:19] op_sel_hi:[1,0,1] neg_lo:[0,0,1] neg_hi:[0,0,1]
	v_pk_fma_f32 v[20:21], v[20:21], 2.0, v[24:25] op_sel_hi:[1,0,1] neg_lo:[0,0,1] neg_hi:[0,0,1]
	v_pk_add_f32 v[14:15], v[26:27], v[14:15] neg_lo:[0,1] neg_hi:[0,1]
	v_pk_add_f32 v[20:21], v[32:33], v[20:21] neg_lo:[0,1] neg_hi:[0,1]
	v_pk_fma_f32 v[26:27], v[26:27], 2.0, v[14:15] op_sel_hi:[1,0,1] neg_lo:[0,0,1] neg_hi:[0,0,1]
	v_pk_fma_f32 v[32:33], v[32:33], 2.0, v[20:21] op_sel_hi:[1,0,1] neg_lo:[0,0,1] neg_hi:[0,0,1]
	s_nop 0
	v_pk_add_f32 v[32:33], v[26:27], v[32:33] neg_lo:[0,1] neg_hi:[0,1]
	s_nop 0
	v_pk_fma_f32 v[26:27], v[26:27], 2.0, v[32:33] op_sel_hi:[1,0,1] neg_lo:[0,0,1] neg_hi:[0,0,1]
	ds_write_b64 v107, v[26:27]
	v_pk_add_f32 v[26:27], v[16:17], v[22:23] op_sel:[0,1] op_sel_hi:[1,0]
	v_pk_add_f32 v[22:23], v[16:17], v[22:23] op_sel:[0,1] op_sel_hi:[1,0] neg_lo:[0,1] neg_hi:[0,1]
	s_nop 0
	v_mov_b32_e32 v27, v23
	v_pk_add_f32 v[22:23], v[18:19], v[24:25] op_sel:[0,1] op_sel_hi:[1,0]
	v_pk_add_f32 v[24:25], v[18:19], v[24:25] op_sel:[0,1] op_sel_hi:[1,0] neg_lo:[0,1] neg_hi:[0,1]
	v_pk_fma_f32 v[16:17], v[16:17], 2.0, v[26:27] op_sel_hi:[1,0,1] neg_lo:[0,0,1] neg_hi:[0,0,1]
	v_mov_b32_e32 v23, v25
	v_pk_fma_f32 v[18:19], v[18:19], 2.0, v[22:23] op_sel_hi:[1,0,1] neg_lo:[0,0,1] neg_hi:[0,0,1]
	s_nop 0
	v_pk_mul_f32 v[24:25], v[18:19], s[0:1] op_sel_hi:[1,0]
	v_pk_fma_f32 v[18:19], v[18:19], s[0:1], v[16:17] op_sel_hi:[1,0,1] neg_lo:[1,0,0] neg_hi:[1,0,0]
	s_nop 0
	v_pk_add_f32 v[34:35], v[18:19], v[24:25] op_sel:[0,1] op_sel_hi:[1,0]
	v_pk_add_f32 v[18:19], v[18:19], v[24:25] op_sel:[0,1] op_sel_hi:[1,0] neg_lo:[0,1] neg_hi:[0,1]
	s_nop 0
	v_mov_b32_e32 v35, v19
	v_pk_add_f32 v[18:19], v[14:15], v[20:21] op_sel:[0,1] op_sel_hi:[1,0]
	v_pk_add_f32 v[20:21], v[14:15], v[20:21] op_sel:[0,1] op_sel_hi:[1,0] neg_lo:[0,1] neg_hi:[0,1]
	v_pk_fma_f32 v[16:17], v[16:17], 2.0, v[34:35] op_sel_hi:[1,0,1] neg_lo:[0,0,1] neg_hi:[0,0,1]
	v_mov_b32_e32 v19, v21
	v_pk_fma_f32 v[14:15], v[14:15], 2.0, v[18:19] op_sel_hi:[1,0,1] neg_lo:[0,0,1] neg_hi:[0,0,1]
	ds_write2_b64 v106, v[16:17], v[14:15] offset0:13 offset1:26
	v_pk_mul_f32 v[14:15], v[22:23], s[0:1] op_sel_hi:[1,0]
	v_pk_fma_f32 v[16:17], v[22:23], s[0:1], v[26:27] op_sel_hi:[1,0,1]
	s_nop 0
	v_pk_add_f32 v[20:21], v[16:17], v[14:15] op_sel:[0,1] op_sel_hi:[1,0]
	v_pk_add_f32 v[14:15], v[16:17], v[14:15] op_sel:[0,1] op_sel_hi:[1,0] neg_lo:[0,1] neg_hi:[0,1]
	s_nop 0
	v_mov_b32_e32 v21, v15
	v_pk_fma_f32 v[14:15], v[26:27], 2.0, v[20:21] op_sel_hi:[1,0,1] neg_lo:[0,0,1] neg_hi:[0,0,1]
	ds_write2_b64 v106, v[14:15], v[32:33] offset0:39 offset1:52
	ds_write2_b64 v106, v[34:35], v[18:19] offset0:65 offset1:78
	ds_write_b64 v106, v[20:21] offset:728
	s_and_saveexec_b64 s[8:9], vcc
	s_cbranch_execz .LBB0_13
; %bb.12:
	v_pk_mul_f32 v[16:17], v[6:7], v[86:87] op_sel:[0,1]
	v_pk_mul_f32 v[18:19], v[2:3], v[82:83] op_sel_hi:[1,0]
	v_pk_fma_f32 v[32:33], v[6:7], v[86:87], v[16:17] op_sel:[0,0,1] op_sel_hi:[1,1,0]
	v_pk_fma_f32 v[6:7], v[6:7], v[86:87], v[16:17] op_sel:[0,0,1] op_sel_hi:[1,0,0] neg_lo:[1,0,0] neg_hi:[1,0,0]
	v_pk_mul_f32 v[14:15], v[10:11], v[30:31] op_sel:[0,1]
	v_mov_b32_e32 v33, v7
	v_pk_fma_f32 v[6:7], v[2:3], v[46:47], v[18:19] op_sel:[0,1,1] op_sel_hi:[1,1,0]
	v_pk_fma_f32 v[2:3], v[2:3], v[46:47], v[18:19] op_sel:[0,1,1] op_sel_hi:[1,1,0] neg_lo:[1,0,0] neg_hi:[1,0,0]
	v_pk_mul_f32 v[24:25], v[8:9], v[28:29] op_sel:[0,1]
	v_mov_b32_e32 v7, v3
	v_mov_b32_e32 v26, v51
	v_pk_add_f32 v[2:3], v[32:33], v[6:7] neg_lo:[0,1] neg_hi:[0,1]
	v_pk_fma_f32 v[6:7], v[10:11], v[30:31], v[14:15] op_sel:[0,0,1] op_sel_hi:[1,1,0]
	v_pk_fma_f32 v[10:11], v[10:11], v[30:31], v[14:15] op_sel:[0,0,1] op_sel_hi:[1,0,0] neg_lo:[1,0,0] neg_hi:[1,0,0]
	v_pk_mul_f32 v[26:27], v[44:45], v[26:27] op_sel_hi:[1,0]
	v_mov_b32_e32 v7, v11
	v_pk_fma_f32 v[10:11], v[8:9], v[28:29], v[24:25] op_sel:[0,0,1] op_sel_hi:[1,1,0]
	v_pk_fma_f32 v[8:9], v[8:9], v[28:29], v[24:25] op_sel:[0,0,1] op_sel_hi:[1,0,0] neg_lo:[1,0,0] neg_hi:[1,0,0]
	v_pk_mul_f32 v[20:21], v[4:5], v[84:85] op_sel:[0,1]
	v_mov_b32_e32 v11, v9
	v_pk_fma_f32 v[8:9], v[44:45], v[46:47], v[26:27] op_sel:[0,0,1] op_sel_hi:[1,1,0]
	v_pk_fma_f32 v[14:15], v[44:45], v[46:47], v[26:27] op_sel:[0,0,1] op_sel_hi:[1,0,0] neg_lo:[1,0,0] neg_hi:[1,0,0]
	v_pk_mul_f32 v[22:23], v[0:1], v[82:83] op_sel:[0,1]
	v_mov_b32_e32 v9, v15
	v_pk_fma_f32 v[14:15], v[4:5], v[84:85], v[20:21] op_sel:[0,0,1] op_sel_hi:[1,1,0]
	v_pk_fma_f32 v[4:5], v[4:5], v[84:85], v[20:21] op_sel:[0,0,1] op_sel_hi:[1,0,0] neg_lo:[1,0,0] neg_hi:[1,0,0]
	v_pk_add_f32 v[6:7], v[80:81], v[6:7] neg_lo:[0,1] neg_hi:[0,1]
	v_mov_b32_e32 v15, v5
	v_pk_fma_f32 v[4:5], v[0:1], v[12:13], v[22:23] op_sel:[0,0,1] op_sel_hi:[1,1,0]
	v_pk_fma_f32 v[0:1], v[0:1], v[12:13], v[22:23] op_sel:[0,0,1] op_sel_hi:[1,0,0] neg_lo:[1,0,0] neg_hi:[1,0,0]
	v_pk_add_f32 v[8:9], v[10:11], v[8:9] neg_lo:[0,1] neg_hi:[0,1]
	v_mov_b32_e32 v5, v1
	v_pk_add_f32 v[0:1], v[14:15], v[4:5] neg_lo:[0,1] neg_hi:[0,1]
	v_pk_fma_f32 v[4:5], v[80:81], 2.0, v[6:7] op_sel_hi:[1,0,1] neg_lo:[0,0,1] neg_hi:[0,0,1]
	v_pk_fma_f32 v[12:13], v[32:33], 2.0, v[2:3] op_sel_hi:[1,0,1] neg_lo:[0,0,1] neg_hi:[0,0,1]
	;; [unrolled: 1-line block ×4, first 2 shown]
	v_pk_add_f32 v[12:13], v[4:5], v[12:13] neg_lo:[0,1] neg_hi:[0,1]
	v_pk_add_f32 v[10:11], v[14:15], v[10:11] neg_lo:[0,1] neg_hi:[0,1]
	v_pk_fma_f32 v[4:5], v[4:5], 2.0, v[12:13] op_sel_hi:[1,0,1] neg_lo:[0,0,1] neg_hi:[0,0,1]
	v_pk_fma_f32 v[14:15], v[14:15], 2.0, v[10:11] op_sel_hi:[1,0,1] neg_lo:[0,0,1] neg_hi:[0,0,1]
	s_nop 0
	v_pk_add_f32 v[14:15], v[4:5], v[14:15] neg_lo:[0,1] neg_hi:[0,1]
	s_nop 0
	v_pk_fma_f32 v[4:5], v[4:5], 2.0, v[14:15] op_sel_hi:[1,0,1] neg_lo:[0,0,1] neg_hi:[0,0,1]
	ds_write_b64 v108, v[4:5] offset:64
	v_pk_add_f32 v[4:5], v[6:7], v[2:3] op_sel:[0,1] op_sel_hi:[1,0]
	v_pk_add_f32 v[2:3], v[6:7], v[2:3] op_sel:[0,1] op_sel_hi:[1,0] neg_lo:[0,1] neg_hi:[0,1]
	s_nop 0
	v_mov_b32_e32 v5, v3
	v_pk_add_f32 v[2:3], v[0:1], v[8:9] op_sel:[0,1] op_sel_hi:[1,0]
	v_pk_add_f32 v[8:9], v[0:1], v[8:9] op_sel:[0,1] op_sel_hi:[1,0] neg_lo:[0,1] neg_hi:[0,1]
	v_pk_fma_f32 v[6:7], v[6:7], 2.0, v[4:5] op_sel_hi:[1,0,1] neg_lo:[0,0,1] neg_hi:[0,0,1]
	v_mov_b32_e32 v3, v9
	v_pk_fma_f32 v[0:1], v[0:1], 2.0, v[2:3] op_sel_hi:[1,0,1] neg_lo:[0,0,1] neg_hi:[0,0,1]
	s_nop 0
	v_pk_mul_f32 v[8:9], v[0:1], s[0:1] op_sel_hi:[1,0]
	v_pk_fma_f32 v[0:1], v[0:1], s[0:1], v[6:7] op_sel_hi:[1,0,1] neg_lo:[1,0,0] neg_hi:[1,0,0]
	s_nop 0
	v_pk_add_f32 v[16:17], v[0:1], v[8:9] op_sel:[0,1] op_sel_hi:[1,0]
	v_pk_add_f32 v[0:1], v[0:1], v[8:9] op_sel:[0,1] op_sel_hi:[1,0] neg_lo:[0,1] neg_hi:[0,1]
	v_pk_add_f32 v[8:9], v[12:13], v[10:11] op_sel:[0,1] op_sel_hi:[1,0] neg_lo:[0,1] neg_hi:[0,1]
	v_mov_b32_e32 v17, v1
	v_pk_fma_f32 v[0:1], v[6:7], 2.0, v[16:17] op_sel_hi:[1,0,1] neg_lo:[0,0,1] neg_hi:[0,0,1]
	v_pk_add_f32 v[6:7], v[12:13], v[10:11] op_sel:[0,1] op_sel_hi:[1,0]
	s_nop 0
	v_mov_b32_e32 v7, v9
	v_pk_fma_f32 v[8:9], v[12:13], 2.0, v[6:7] op_sel_hi:[1,0,1] neg_lo:[0,0,1] neg_hi:[0,0,1]
	ds_write2_b64 v106, v[0:1], v[8:9] offset0:21 offset1:34
	v_pk_mul_f32 v[0:1], v[2:3], s[0:1] op_sel_hi:[1,0]
	v_pk_fma_f32 v[2:3], v[2:3], s[0:1], v[4:5] op_sel_hi:[1,0,1]
	s_nop 0
	v_pk_add_f32 v[8:9], v[2:3], v[0:1] op_sel:[0,1] op_sel_hi:[1,0]
	v_pk_add_f32 v[0:1], v[2:3], v[0:1] op_sel:[0,1] op_sel_hi:[1,0] neg_lo:[0,1] neg_hi:[0,1]
	s_nop 0
	v_mov_b32_e32 v9, v1
	v_pk_fma_f32 v[0:1], v[4:5], 2.0, v[8:9] op_sel_hi:[1,0,1] neg_lo:[0,0,1] neg_hi:[0,0,1]
	ds_write2_b64 v106, v[0:1], v[14:15] offset0:47 offset1:60
	ds_write2_b64 v106, v[16:17], v[6:7] offset0:73 offset1:86
	ds_write_b64 v106, v[8:9] offset:792
.LBB0_13:
	s_or_b64 exec, exec, s[8:9]
	s_waitcnt lgkmcnt(0)
	; wave barrier
	s_waitcnt lgkmcnt(0)
	ds_read_b64 v[6:7], v107
	v_mad_u64_u32 v[2:3], s[0:1], s6, v78, 0
	v_mov_b32_e32 v4, v3
	v_mad_u64_u32 v[4:5], s[0:1], s7, v78, v[4:5]
	s_waitcnt lgkmcnt(0)
	v_mul_f32_e32 v10, v75, v7
	v_fmac_f32_e32 v10, v74, v6
	v_mul_f32_e32 v6, v75, v6
	s_mov_b32 s0, 0x13b13b14
	v_fma_f32 v6, v74, v7, -v6
	v_cvt_f64_f32_e32 v[10:11], v10
	s_mov_b32 s1, 0x3f83b13b
	v_cvt_f64_f32_e32 v[6:7], v6
	v_mul_f64 v[10:11], v[10:11], s[0:1]
	v_mul_f64 v[6:7], v[6:7], s[0:1]
	v_mov_b32_e32 v0, s2
	v_mov_b32_e32 v1, s3
	;; [unrolled: 1-line block ×3, first 2 shown]
	ds_read_b64 v[4:5], v108 offset:64
	ds_read_b64 v[8:9], v106 offset:768
	v_cvt_f32_f64_e32 v10, v[10:11]
	v_cvt_f32_f64_e32 v11, v[6:7]
	v_mad_u64_u32 v[6:7], s[2:3], s4, v79, 0
	v_mov_b32_e32 v12, v7
	v_mad_u64_u32 v[12:13], s[2:3], s5, v79, v[12:13]
	v_mov_b32_e32 v7, v12
	v_lshl_add_u64 v[0:1], v[2:3], 3, v[0:1]
	v_lshl_add_u64 v[6:7], v[6:7], 3, v[0:1]
	s_waitcnt lgkmcnt(1)
	v_mul_f32_e32 v0, v77, v5
	v_fmac_f32_e32 v0, v76, v4
	v_cvt_f64_f32_e32 v[0:1], v0
	v_mul_f64 v[0:1], v[0:1], s[0:1]
	global_store_dwordx2 v[6:7], v[10:11], off
	v_cvt_f32_f64_e32 v10, v[0:1]
	v_mul_f32_e32 v0, v77, v4
	v_fma_f32 v0, v76, v5, -v0
	v_cvt_f64_f32_e32 v[0:1], v0
	v_mul_f64 v[4:5], v[0:1], s[0:1]
	ds_read2_b64 v[0:3], v106 offset0:16 offset1:24
	s_lshl_b64 s[2:3], s[4:5], 6
	v_cvt_f32_f64_e32 v11, v[4:5]
	v_lshl_add_u64 v[4:5], v[6:7], 0, s[2:3]
	global_store_dwordx2 v[4:5], v[10:11], off
	s_waitcnt lgkmcnt(0)
	v_mul_f32_e32 v6, v71, v1
	v_fmac_f32_e32 v6, v70, v0
	v_mul_f32_e32 v0, v71, v0
	v_fma_f32 v0, v70, v1, -v0
	v_cvt_f64_f32_e32 v[6:7], v6
	v_cvt_f64_f32_e32 v[0:1], v0
	v_mul_f64 v[6:7], v[6:7], s[0:1]
	v_mul_f64 v[0:1], v[0:1], s[0:1]
	v_cvt_f32_f64_e32 v6, v[6:7]
	v_cvt_f32_f64_e32 v7, v[0:1]
	v_mul_f32_e32 v0, v73, v3
	v_fmac_f32_e32 v0, v72, v2
	v_cvt_f64_f32_e32 v[0:1], v0
	v_lshl_add_u64 v[4:5], v[4:5], 0, s[2:3]
	v_mul_f64 v[0:1], v[0:1], s[0:1]
	global_store_dwordx2 v[4:5], v[6:7], off
	v_cvt_f32_f64_e32 v6, v[0:1]
	v_mul_f32_e32 v0, v73, v2
	v_fma_f32 v0, v72, v3, -v0
	v_cvt_f64_f32_e32 v[10:11], v0
	ds_read2_b64 v[0:3], v106 offset0:32 offset1:40
	v_mul_f64 v[10:11], v[10:11], s[0:1]
	v_cvt_f32_f64_e32 v7, v[10:11]
	v_lshl_add_u64 v[4:5], v[4:5], 0, s[2:3]
	global_store_dwordx2 v[4:5], v[6:7], off
	s_waitcnt lgkmcnt(0)
	v_mul_f32_e32 v6, v69, v1
	v_fmac_f32_e32 v6, v68, v0
	v_mul_f32_e32 v0, v69, v0
	v_fma_f32 v0, v68, v1, -v0
	v_cvt_f64_f32_e32 v[6:7], v6
	v_cvt_f64_f32_e32 v[0:1], v0
	v_mul_f64 v[6:7], v[6:7], s[0:1]
	v_mul_f64 v[0:1], v[0:1], s[0:1]
	v_cvt_f32_f64_e32 v6, v[6:7]
	v_cvt_f32_f64_e32 v7, v[0:1]
	v_mul_f32_e32 v0, v67, v3
	v_fmac_f32_e32 v0, v66, v2
	v_cvt_f64_f32_e32 v[0:1], v0
	v_lshl_add_u64 v[4:5], v[4:5], 0, s[2:3]
	v_mul_f64 v[0:1], v[0:1], s[0:1]
	global_store_dwordx2 v[4:5], v[6:7], off
	v_cvt_f32_f64_e32 v6, v[0:1]
	v_mul_f32_e32 v0, v67, v2
	v_fma_f32 v0, v66, v3, -v0
	v_cvt_f64_f32_e32 v[10:11], v0
	ds_read2_b64 v[0:3], v106 offset0:48 offset1:56
	v_mul_f64 v[10:11], v[10:11], s[0:1]
	;; [unrolled: 26-line block ×4, first 2 shown]
	v_cvt_f32_f64_e32 v7, v[10:11]
	v_lshl_add_u64 v[4:5], v[4:5], 0, s[2:3]
	global_store_dwordx2 v[4:5], v[6:7], off
	s_waitcnt lgkmcnt(0)
	v_mul_f32_e32 v6, v57, v1
	v_fmac_f32_e32 v6, v56, v0
	v_mul_f32_e32 v0, v57, v0
	v_fma_f32 v0, v56, v1, -v0
	v_cvt_f64_f32_e32 v[6:7], v6
	v_cvt_f64_f32_e32 v[0:1], v0
	v_mul_f64 v[6:7], v[6:7], s[0:1]
	v_mul_f64 v[0:1], v[0:1], s[0:1]
	v_cvt_f32_f64_e32 v6, v[6:7]
	v_cvt_f32_f64_e32 v7, v[0:1]
	v_lshl_add_u64 v[0:1], v[4:5], 0, s[2:3]
	v_mul_f32_e32 v4, v55, v3
	v_fmac_f32_e32 v4, v54, v2
	v_mul_f32_e32 v2, v55, v2
	v_fma_f32 v2, v54, v3, -v2
	v_cvt_f64_f32_e32 v[4:5], v4
	v_cvt_f64_f32_e32 v[2:3], v2
	v_mul_f64 v[4:5], v[4:5], s[0:1]
	v_mul_f64 v[2:3], v[2:3], s[0:1]
	v_cvt_f32_f64_e32 v4, v[4:5]
	v_cvt_f32_f64_e32 v5, v[2:3]
	v_mul_f32_e32 v2, v53, v9
	v_fmac_f32_e32 v2, v52, v8
	v_cvt_f64_f32_e32 v[2:3], v2
	v_mul_f64 v[2:3], v[2:3], s[0:1]
	v_cvt_f32_f64_e32 v2, v[2:3]
	v_mul_f32_e32 v3, v53, v8
	global_store_dwordx2 v[0:1], v[6:7], off
	v_lshl_add_u64 v[0:1], v[0:1], 0, s[2:3]
	v_fma_f32 v3, v52, v9, -v3
	global_store_dwordx2 v[0:1], v[4:5], off
	v_cvt_f64_f32_e32 v[4:5], v3
	v_mul_f64 v[4:5], v[4:5], s[0:1]
	v_cvt_f32_f64_e32 v3, v[4:5]
	v_lshl_add_u64 v[0:1], v[0:1], 0, s[2:3]
	global_store_dwordx2 v[0:1], v[2:3], off
.LBB0_14:
	s_endpgm
	.section	.rodata,"a",@progbits
	.p2align	6, 0x0
	.amdhsa_kernel bluestein_single_back_len104_dim1_sp_op_CI_CI
		.amdhsa_group_segment_fixed_size 6656
		.amdhsa_private_segment_fixed_size 0
		.amdhsa_kernarg_size 104
		.amdhsa_user_sgpr_count 2
		.amdhsa_user_sgpr_dispatch_ptr 0
		.amdhsa_user_sgpr_queue_ptr 0
		.amdhsa_user_sgpr_kernarg_segment_ptr 1
		.amdhsa_user_sgpr_dispatch_id 0
		.amdhsa_user_sgpr_kernarg_preload_length 0
		.amdhsa_user_sgpr_kernarg_preload_offset 0
		.amdhsa_user_sgpr_private_segment_size 0
		.amdhsa_uses_dynamic_stack 0
		.amdhsa_enable_private_segment 0
		.amdhsa_system_sgpr_workgroup_id_x 1
		.amdhsa_system_sgpr_workgroup_id_y 0
		.amdhsa_system_sgpr_workgroup_id_z 0
		.amdhsa_system_sgpr_workgroup_info 0
		.amdhsa_system_vgpr_workitem_id 0
		.amdhsa_next_free_vgpr 196
		.amdhsa_next_free_sgpr 44
		.amdhsa_accum_offset 196
		.amdhsa_reserve_vcc 1
		.amdhsa_float_round_mode_32 0
		.amdhsa_float_round_mode_16_64 0
		.amdhsa_float_denorm_mode_32 3
		.amdhsa_float_denorm_mode_16_64 3
		.amdhsa_dx10_clamp 1
		.amdhsa_ieee_mode 1
		.amdhsa_fp16_overflow 0
		.amdhsa_tg_split 0
		.amdhsa_exception_fp_ieee_invalid_op 0
		.amdhsa_exception_fp_denorm_src 0
		.amdhsa_exception_fp_ieee_div_zero 0
		.amdhsa_exception_fp_ieee_overflow 0
		.amdhsa_exception_fp_ieee_underflow 0
		.amdhsa_exception_fp_ieee_inexact 0
		.amdhsa_exception_int_div_zero 0
	.end_amdhsa_kernel
	.text
.Lfunc_end0:
	.size	bluestein_single_back_len104_dim1_sp_op_CI_CI, .Lfunc_end0-bluestein_single_back_len104_dim1_sp_op_CI_CI
                                        ; -- End function
	.section	.AMDGPU.csdata,"",@progbits
; Kernel info:
; codeLenInByte = 10536
; NumSgprs: 50
; NumVgprs: 196
; NumAgprs: 0
; TotalNumVgprs: 196
; ScratchSize: 0
; MemoryBound: 0
; FloatMode: 240
; IeeeMode: 1
; LDSByteSize: 6656 bytes/workgroup (compile time only)
; SGPRBlocks: 6
; VGPRBlocks: 24
; NumSGPRsForWavesPerEU: 50
; NumVGPRsForWavesPerEU: 196
; AccumOffset: 196
; Occupancy: 2
; WaveLimiterHint : 1
; COMPUTE_PGM_RSRC2:SCRATCH_EN: 0
; COMPUTE_PGM_RSRC2:USER_SGPR: 2
; COMPUTE_PGM_RSRC2:TRAP_HANDLER: 0
; COMPUTE_PGM_RSRC2:TGID_X_EN: 1
; COMPUTE_PGM_RSRC2:TGID_Y_EN: 0
; COMPUTE_PGM_RSRC2:TGID_Z_EN: 0
; COMPUTE_PGM_RSRC2:TIDIG_COMP_CNT: 0
; COMPUTE_PGM_RSRC3_GFX90A:ACCUM_OFFSET: 48
; COMPUTE_PGM_RSRC3_GFX90A:TG_SPLIT: 0
	.text
	.p2alignl 6, 3212836864
	.fill 256, 4, 3212836864
	.type	__hip_cuid_f92d4de0a0920dcb,@object ; @__hip_cuid_f92d4de0a0920dcb
	.section	.bss,"aw",@nobits
	.globl	__hip_cuid_f92d4de0a0920dcb
__hip_cuid_f92d4de0a0920dcb:
	.byte	0                               ; 0x0
	.size	__hip_cuid_f92d4de0a0920dcb, 1

	.ident	"AMD clang version 19.0.0git (https://github.com/RadeonOpenCompute/llvm-project roc-6.4.0 25133 c7fe45cf4b819c5991fe208aaa96edf142730f1d)"
	.section	".note.GNU-stack","",@progbits
	.addrsig
	.addrsig_sym __hip_cuid_f92d4de0a0920dcb
	.amdgpu_metadata
---
amdhsa.kernels:
  - .agpr_count:     0
    .args:
      - .actual_access:  read_only
        .address_space:  global
        .offset:         0
        .size:           8
        .value_kind:     global_buffer
      - .actual_access:  read_only
        .address_space:  global
        .offset:         8
        .size:           8
        .value_kind:     global_buffer
      - .actual_access:  read_only
        .address_space:  global
        .offset:         16
        .size:           8
        .value_kind:     global_buffer
      - .actual_access:  read_only
        .address_space:  global
        .offset:         24
        .size:           8
        .value_kind:     global_buffer
      - .actual_access:  read_only
        .address_space:  global
        .offset:         32
        .size:           8
        .value_kind:     global_buffer
      - .offset:         40
        .size:           8
        .value_kind:     by_value
      - .address_space:  global
        .offset:         48
        .size:           8
        .value_kind:     global_buffer
      - .address_space:  global
        .offset:         56
        .size:           8
        .value_kind:     global_buffer
      - .address_space:  global
        .offset:         64
        .size:           8
        .value_kind:     global_buffer
      - .address_space:  global
        .offset:         72
        .size:           8
        .value_kind:     global_buffer
      - .offset:         80
        .size:           4
        .value_kind:     by_value
      - .address_space:  global
        .offset:         88
        .size:           8
        .value_kind:     global_buffer
      - .address_space:  global
        .offset:         96
        .size:           8
        .value_kind:     global_buffer
    .group_segment_fixed_size: 6656
    .kernarg_segment_align: 8
    .kernarg_segment_size: 104
    .language:       OpenCL C
    .language_version:
      - 2
      - 0
    .max_flat_workgroup_size: 64
    .name:           bluestein_single_back_len104_dim1_sp_op_CI_CI
    .private_segment_fixed_size: 0
    .sgpr_count:     50
    .sgpr_spill_count: 0
    .symbol:         bluestein_single_back_len104_dim1_sp_op_CI_CI.kd
    .uniform_work_group_size: 1
    .uses_dynamic_stack: false
    .vgpr_count:     196
    .vgpr_spill_count: 0
    .wavefront_size: 64
amdhsa.target:   amdgcn-amd-amdhsa--gfx950
amdhsa.version:
  - 1
  - 2
...

	.end_amdgpu_metadata
